;; amdgpu-corpus repo=zjin-lcf/HeCBench kind=compiled arch=gfx906 opt=O3
	.amdgcn_target "amdgcn-amd-amdhsa--gfx906"
	.amdhsa_code_object_version 6
	.text
	.protected	_Z17initialize_bufferPffi ; -- Begin function _Z17initialize_bufferPffi
	.globl	_Z17initialize_bufferPffi
	.p2align	8
	.type	_Z17initialize_bufferPffi,@function
_Z17initialize_bufferPffi:              ; @_Z17initialize_bufferPffi
; %bb.0:
	s_load_dword s2, s[4:5], 0x1c
	s_load_dwordx2 s[0:1], s[4:5], 0x8
	s_waitcnt lgkmcnt(0)
	s_and_b32 s2, s2, 0xffff
	s_mul_i32 s6, s6, s2
	v_add_u32_e32 v0, s6, v0
	v_cmp_gt_i32_e32 vcc, s1, v0
	s_and_saveexec_b64 s[2:3], vcc
	s_cbranch_execz .LBB0_2
; %bb.1:
	s_load_dwordx2 s[2:3], s[4:5], 0x0
	v_ashrrev_i32_e32 v1, 31, v0
	v_lshlrev_b64 v[0:1], 2, v[0:1]
	s_waitcnt lgkmcnt(0)
	v_mov_b32_e32 v2, s3
	v_add_co_u32_e32 v0, vcc, s2, v0
	v_addc_co_u32_e32 v1, vcc, v2, v1, vcc
	v_mov_b32_e32 v2, s0
	global_store_dword v[0:1], v2, off
.LBB0_2:
	s_endpgm
	.section	.rodata,"a",@progbits
	.p2align	6, 0x0
	.amdhsa_kernel _Z17initialize_bufferPffi
		.amdhsa_group_segment_fixed_size 0
		.amdhsa_private_segment_fixed_size 0
		.amdhsa_kernarg_size 272
		.amdhsa_user_sgpr_count 6
		.amdhsa_user_sgpr_private_segment_buffer 1
		.amdhsa_user_sgpr_dispatch_ptr 0
		.amdhsa_user_sgpr_queue_ptr 0
		.amdhsa_user_sgpr_kernarg_segment_ptr 1
		.amdhsa_user_sgpr_dispatch_id 0
		.amdhsa_user_sgpr_flat_scratch_init 0
		.amdhsa_user_sgpr_private_segment_size 0
		.amdhsa_uses_dynamic_stack 0
		.amdhsa_system_sgpr_private_segment_wavefront_offset 0
		.amdhsa_system_sgpr_workgroup_id_x 1
		.amdhsa_system_sgpr_workgroup_id_y 0
		.amdhsa_system_sgpr_workgroup_id_z 0
		.amdhsa_system_sgpr_workgroup_info 0
		.amdhsa_system_vgpr_workitem_id 0
		.amdhsa_next_free_vgpr 3
		.amdhsa_next_free_sgpr 7
		.amdhsa_reserve_vcc 1
		.amdhsa_reserve_flat_scratch 0
		.amdhsa_float_round_mode_32 0
		.amdhsa_float_round_mode_16_64 0
		.amdhsa_float_denorm_mode_32 3
		.amdhsa_float_denorm_mode_16_64 3
		.amdhsa_dx10_clamp 1
		.amdhsa_ieee_mode 1
		.amdhsa_fp16_overflow 0
		.amdhsa_exception_fp_ieee_invalid_op 0
		.amdhsa_exception_fp_denorm_src 0
		.amdhsa_exception_fp_ieee_div_zero 0
		.amdhsa_exception_fp_ieee_overflow 0
		.amdhsa_exception_fp_ieee_underflow 0
		.amdhsa_exception_fp_ieee_inexact 0
		.amdhsa_exception_int_div_zero 0
	.end_amdhsa_kernel
	.text
.Lfunc_end0:
	.size	_Z17initialize_bufferPffi, .Lfunc_end0-_Z17initialize_bufferPffi
                                        ; -- End function
	.set _Z17initialize_bufferPffi.num_vgpr, 3
	.set _Z17initialize_bufferPffi.num_agpr, 0
	.set _Z17initialize_bufferPffi.numbered_sgpr, 7
	.set _Z17initialize_bufferPffi.num_named_barrier, 0
	.set _Z17initialize_bufferPffi.private_seg_size, 0
	.set _Z17initialize_bufferPffi.uses_vcc, 1
	.set _Z17initialize_bufferPffi.uses_flat_scratch, 0
	.set _Z17initialize_bufferPffi.has_dyn_sized_stack, 0
	.set _Z17initialize_bufferPffi.has_recursion, 0
	.set _Z17initialize_bufferPffi.has_indirect_call, 0
	.section	.AMDGPU.csdata,"",@progbits
; Kernel info:
; codeLenInByte = 100
; TotalNumSgprs: 11
; NumVgprs: 3
; ScratchSize: 0
; MemoryBound: 0
; FloatMode: 240
; IeeeMode: 1
; LDSByteSize: 0 bytes/workgroup (compile time only)
; SGPRBlocks: 1
; VGPRBlocks: 0
; NumSGPRsForWavesPerEU: 11
; NumVGPRsForWavesPerEU: 3
; Occupancy: 10
; WaveLimiterHint : 0
; COMPUTE_PGM_RSRC2:SCRATCH_EN: 0
; COMPUTE_PGM_RSRC2:USER_SGPR: 6
; COMPUTE_PGM_RSRC2:TRAP_HANDLER: 0
; COMPUTE_PGM_RSRC2:TGID_X_EN: 1
; COMPUTE_PGM_RSRC2:TGID_Y_EN: 0
; COMPUTE_PGM_RSRC2:TGID_Z_EN: 0
; COMPUTE_PGM_RSRC2:TIDIG_COMP_CNT: 0
	.text
	.protected	_Z20initialize_variablesiPfPKf ; -- Begin function _Z20initialize_variablesiPfPKf
	.globl	_Z20initialize_variablesiPfPKf
	.p2align	8
	.type	_Z20initialize_variablesiPfPKf,@function
_Z20initialize_variablesiPfPKf:         ; @_Z20initialize_variablesiPfPKf
; %bb.0:
	s_load_dword s7, s[4:5], 0x24
	s_load_dwordx4 s[0:3], s[4:5], 0x8
	v_mov_b32_e32 v3, 0
	s_load_dword s4, s[4:5], 0x0
	s_waitcnt lgkmcnt(0)
	s_and_b32 s7, s7, 0xffff
	s_mul_i32 s6, s6, s7
	v_add_u32_e32 v0, s6, v0
	s_load_dword s6, s[2:3], 0x0
	v_ashrrev_i32_e32 v1, 31, v0
	v_lshlrev_b64 v[1:2], 2, v[0:1]
	v_mov_b32_e32 v4, s1
	v_add_co_u32_e32 v1, vcc, s0, v1
	v_addc_co_u32_e32 v2, vcc, v4, v2, vcc
	s_waitcnt lgkmcnt(0)
	v_mov_b32_e32 v4, s6
	global_store_dword v[1:2], v4, off
	global_load_dword v4, v3, s[2:3] offset:4
	s_ashr_i32 s5, s4, 31
	s_lshl_b64 s[6:7], s[4:5], 2
	v_mov_b32_e32 v5, s7
	v_add_co_u32_e32 v1, vcc, s6, v1
	v_addc_co_u32_e32 v2, vcc, v2, v5, vcc
	s_add_i32 s5, s4, s4
	v_add_u32_e32 v0, s5, v0
	v_mov_b32_e32 v5, s1
	s_waitcnt vmcnt(0)
	global_store_dword v[1:2], v4, off
	global_load_dword v4, v3, s[2:3] offset:8
	v_ashrrev_i32_e32 v1, 31, v0
	v_lshlrev_b64 v[1:2], 2, v[0:1]
	v_add_u32_e32 v0, s4, v0
	v_add_co_u32_e32 v1, vcc, s0, v1
	v_addc_co_u32_e32 v2, vcc, v5, v2, vcc
	s_waitcnt vmcnt(0)
	global_store_dword v[1:2], v4, off
	global_load_dword v4, v3, s[2:3] offset:12
	v_ashrrev_i32_e32 v1, 31, v0
	v_lshlrev_b64 v[1:2], 2, v[0:1]
	v_add_u32_e32 v0, s4, v0
	v_add_co_u32_e32 v1, vcc, s0, v1
	v_addc_co_u32_e32 v2, vcc, v5, v2, vcc
	s_waitcnt vmcnt(0)
	global_store_dword v[1:2], v4, off
	global_load_dword v2, v3, s[2:3] offset:16
	v_ashrrev_i32_e32 v1, 31, v0
	v_lshlrev_b64 v[0:1], 2, v[0:1]
	v_mov_b32_e32 v3, s1
	v_add_co_u32_e32 v0, vcc, s0, v0
	v_addc_co_u32_e32 v1, vcc, v3, v1, vcc
	s_waitcnt vmcnt(0)
	global_store_dword v[0:1], v2, off
	s_endpgm
	.section	.rodata,"a",@progbits
	.p2align	6, 0x0
	.amdhsa_kernel _Z20initialize_variablesiPfPKf
		.amdhsa_group_segment_fixed_size 0
		.amdhsa_private_segment_fixed_size 0
		.amdhsa_kernarg_size 280
		.amdhsa_user_sgpr_count 6
		.amdhsa_user_sgpr_private_segment_buffer 1
		.amdhsa_user_sgpr_dispatch_ptr 0
		.amdhsa_user_sgpr_queue_ptr 0
		.amdhsa_user_sgpr_kernarg_segment_ptr 1
		.amdhsa_user_sgpr_dispatch_id 0
		.amdhsa_user_sgpr_flat_scratch_init 0
		.amdhsa_user_sgpr_private_segment_size 0
		.amdhsa_uses_dynamic_stack 0
		.amdhsa_system_sgpr_private_segment_wavefront_offset 0
		.amdhsa_system_sgpr_workgroup_id_x 1
		.amdhsa_system_sgpr_workgroup_id_y 0
		.amdhsa_system_sgpr_workgroup_id_z 0
		.amdhsa_system_sgpr_workgroup_info 0
		.amdhsa_system_vgpr_workitem_id 0
		.amdhsa_next_free_vgpr 6
		.amdhsa_next_free_sgpr 8
		.amdhsa_reserve_vcc 1
		.amdhsa_reserve_flat_scratch 0
		.amdhsa_float_round_mode_32 0
		.amdhsa_float_round_mode_16_64 0
		.amdhsa_float_denorm_mode_32 3
		.amdhsa_float_denorm_mode_16_64 3
		.amdhsa_dx10_clamp 1
		.amdhsa_ieee_mode 1
		.amdhsa_fp16_overflow 0
		.amdhsa_exception_fp_ieee_invalid_op 0
		.amdhsa_exception_fp_denorm_src 0
		.amdhsa_exception_fp_ieee_div_zero 0
		.amdhsa_exception_fp_ieee_overflow 0
		.amdhsa_exception_fp_ieee_underflow 0
		.amdhsa_exception_fp_ieee_inexact 0
		.amdhsa_exception_int_div_zero 0
	.end_amdhsa_kernel
	.text
.Lfunc_end1:
	.size	_Z20initialize_variablesiPfPKf, .Lfunc_end1-_Z20initialize_variablesiPfPKf
                                        ; -- End function
	.set _Z20initialize_variablesiPfPKf.num_vgpr, 6
	.set _Z20initialize_variablesiPfPKf.num_agpr, 0
	.set _Z20initialize_variablesiPfPKf.numbered_sgpr, 8
	.set _Z20initialize_variablesiPfPKf.num_named_barrier, 0
	.set _Z20initialize_variablesiPfPKf.private_seg_size, 0
	.set _Z20initialize_variablesiPfPKf.uses_vcc, 1
	.set _Z20initialize_variablesiPfPKf.uses_flat_scratch, 0
	.set _Z20initialize_variablesiPfPKf.has_dyn_sized_stack, 0
	.set _Z20initialize_variablesiPfPKf.has_recursion, 0
	.set _Z20initialize_variablesiPfPKf.has_indirect_call, 0
	.section	.AMDGPU.csdata,"",@progbits
; Kernel info:
; codeLenInByte = 284
; TotalNumSgprs: 12
; NumVgprs: 6
; ScratchSize: 0
; MemoryBound: 0
; FloatMode: 240
; IeeeMode: 1
; LDSByteSize: 0 bytes/workgroup (compile time only)
; SGPRBlocks: 1
; VGPRBlocks: 1
; NumSGPRsForWavesPerEU: 12
; NumVGPRsForWavesPerEU: 6
; Occupancy: 10
; WaveLimiterHint : 0
; COMPUTE_PGM_RSRC2:SCRATCH_EN: 0
; COMPUTE_PGM_RSRC2:USER_SGPR: 6
; COMPUTE_PGM_RSRC2:TRAP_HANDLER: 0
; COMPUTE_PGM_RSRC2:TGID_X_EN: 1
; COMPUTE_PGM_RSRC2:TGID_Y_EN: 0
; COMPUTE_PGM_RSRC2:TGID_Z_EN: 0
; COMPUTE_PGM_RSRC2:TIDIG_COMP_CNT: 0
	.text
	.protected	_Z19compute_step_factoriPfS_S_ ; -- Begin function _Z19compute_step_factoriPfS_S_
	.globl	_Z19compute_step_factoriPfS_S_
	.p2align	8
	.type	_Z19compute_step_factoriPfS_S_,@function
_Z19compute_step_factoriPfS_S_:         ; @_Z19compute_step_factoriPfS_S_
; %bb.0:
	s_load_dword s0, s[4:5], 0x2c
	s_load_dword s8, s[4:5], 0x0
	s_waitcnt lgkmcnt(0)
	s_and_b32 s0, s0, 0xffff
	s_mul_i32 s6, s6, s0
	v_add_u32_e32 v2, s6, v0
	v_cmp_gt_i32_e32 vcc, s8, v2
	s_and_saveexec_b64 s[0:1], vcc
	s_cbranch_execz .LBB2_2
; %bb.1:
	s_load_dwordx4 s[0:3], s[4:5], 0x8
	s_load_dwordx2 s[6:7], s[4:5], 0x18
	v_ashrrev_i32_e32 v3, 31, v2
	v_lshlrev_b64 v[0:1], 2, v[2:3]
	s_ashr_i32 s9, s8, 31
	s_waitcnt lgkmcnt(0)
	v_mov_b32_e32 v3, s1
	v_add_co_u32_e32 v5, vcc, s0, v0
	v_addc_co_u32_e32 v6, vcc, v3, v1, vcc
	s_lshl_b64 s[4:5], s[8:9], 2
	v_add_co_u32_e32 v7, vcc, s4, v5
	s_add_i32 s4, s8, s8
	v_add_u32_e32 v9, s4, v2
	v_mov_b32_e32 v3, s5
	v_ashrrev_i32_e32 v10, 31, v9
	v_addc_co_u32_e32 v8, vcc, v6, v3, vcc
	v_lshlrev_b64 v[2:3], 2, v[9:10]
	v_mov_b32_e32 v4, s1
	v_add_co_u32_e32 v10, vcc, s0, v2
	v_addc_co_u32_e32 v11, vcc, v4, v3, vcc
	global_load_dword v2, v[5:6], off
	global_load_dword v3, v[7:8], off
	;; [unrolled: 1-line block ×3, first 2 shown]
	v_add_u32_e32 v6, s8, v9
	v_ashrrev_i32_e32 v7, 31, v6
	v_lshlrev_b64 v[7:8], 2, v[6:7]
	v_mov_b32_e32 v5, s1
	v_add_co_u32_e32 v7, vcc, s0, v7
	v_addc_co_u32_e32 v8, vcc, v5, v8, vcc
	global_load_dword v5, v[7:8], off
	v_add_u32_e32 v6, s8, v6
	v_ashrrev_i32_e32 v7, 31, v6
	v_lshlrev_b64 v[6:7], 2, v[6:7]
	v_mov_b32_e32 v8, s1
	v_add_co_u32_e32 v6, vcc, s0, v6
	v_addc_co_u32_e32 v7, vcc, v8, v7, vcc
	global_load_dword v6, v[6:7], off
	v_mov_b32_e32 v8, s3
	v_add_co_u32_e32 v7, vcc, s2, v0
	v_addc_co_u32_e32 v8, vcc, v8, v1, vcc
	global_load_dword v7, v[7:8], off
	s_mov_b32 s4, 0xf800000
	s_waitcnt vmcnt(4)
	v_div_scale_f32 v8, s[0:1], v2, v2, v3
	s_waitcnt vmcnt(3)
	v_div_scale_f32 v9, s[0:1], v2, v2, v4
	v_div_scale_f32 v11, vcc, v3, v2, v3
	s_waitcnt vmcnt(2)
	v_div_scale_f32 v10, s[0:1], v2, v2, v5
	v_div_scale_f32 v12, s[0:1], v4, v2, v4
	;; [unrolled: 1-line block ×3, first 2 shown]
	v_rcp_f32_e32 v14, v8
	v_rcp_f32_e32 v15, v9
	v_fma_f32 v17, -v8, v14, 1.0
	v_fmac_f32_e32 v14, v17, v14
	v_fma_f32 v18, -v9, v15, 1.0
	v_fmac_f32_e32 v15, v18, v15
	v_mul_f32_e32 v17, v11, v14
	v_rcp_f32_e32 v16, v10
	v_mul_f32_e32 v18, v12, v15
	v_fma_f32 v19, -v10, v16, 1.0
	v_fmac_f32_e32 v16, v19, v16
	v_fma_f32 v19, -v8, v17, v11
	v_fmac_f32_e32 v17, v19, v14
	v_fma_f32 v19, -v9, v18, v12
	v_fmac_f32_e32 v18, v19, v15
	v_mul_f32_e32 v19, v13, v16
	v_fma_f32 v8, -v8, v17, v11
	v_fma_f32 v20, -v10, v19, v13
	;; [unrolled: 1-line block ×3, first 2 shown]
	v_div_fmas_f32 v8, v8, v14, v17
	s_mov_b64 vcc, s[0:1]
	v_fmac_f32_e32 v19, v20, v16
	v_div_fmas_f32 v9, v9, v15, v18
	v_fma_f32 v10, -v10, v19, v13
	s_mov_b64 vcc, s[2:3]
	v_div_fmas_f32 v10, v10, v16, v19
	v_mul_f32_e32 v11, 0.5, v2
	v_div_fixup_f32 v3, v8, v2, v3
	v_div_fixup_f32 v4, v9, v2, v4
	v_mul_f32_e32 v4, v4, v4
	v_fmac_f32_e32 v4, v3, v3
	v_div_fixup_f32 v5, v10, v2, v5
	v_fmac_f32_e32 v4, v5, v5
	s_waitcnt vmcnt(1)
	v_fma_f32 v3, -v11, v4, v6
	v_mul_f32_e32 v3, 0x3ecccccc, v3
	v_mul_f32_e32 v3, 0x3fb33333, v3
	v_div_scale_f32 v5, s[0:1], v2, v2, v3
	v_div_scale_f32 v8, vcc, v3, v2, v3
	s_waitcnt vmcnt(0)
	v_mul_f32_e32 v6, 0x4f800000, v7
	v_cmp_gt_f32_e64 s[0:1], s4, v7
	v_cndmask_b32_e64 v6, v7, v6, s[0:1]
	v_sqrt_f32_e32 v7, v6
	v_mov_b32_e32 v9, 0x260
	v_add_u32_e32 v10, -1, v7
	v_fma_f32 v12, -v10, v7, v6
	v_add_u32_e32 v11, 1, v7
	v_cmp_ge_f32_e64 s[2:3], 0, v12
	v_fma_f32 v13, -v11, v7, v6
	v_cndmask_b32_e64 v7, v7, v10, s[2:3]
	v_rcp_f32_e32 v10, v5
	v_cmp_lt_f32_e64 s[2:3], 0, v13
	v_mul_f32_e32 v12, 0x4f800000, v4
	v_cndmask_b32_e64 v7, v7, v11, s[2:3]
	v_fma_f32 v13, -v5, v10, 1.0
	v_fmac_f32_e32 v10, v13, v10
	v_mul_f32_e32 v13, v8, v10
	v_fma_f32 v14, -v5, v13, v8
	v_fmac_f32_e32 v13, v14, v10
	v_fma_f32 v5, -v5, v13, v8
	v_div_fmas_f32 v5, v5, v10, v13
	v_cmp_gt_f32_e32 vcc, s4, v4
	v_cndmask_b32_e32 v4, v4, v12, vcc
	v_sqrt_f32_e32 v8, v4
	v_mul_f32_e32 v11, 0x37800000, v7
	v_cndmask_b32_e64 v7, v7, v11, s[0:1]
	v_cmp_class_f32_e64 s[0:1], v6, v9
	v_cndmask_b32_e64 v6, v7, v6, s[0:1]
	v_add_u32_e32 v7, -1, v8
	v_add_u32_e32 v10, 1, v8
	v_fma_f32 v11, -v7, v8, v4
	v_fma_f32 v12, -v10, v8, v4
	v_cmp_ge_f32_e64 s[0:1], 0, v11
	v_cndmask_b32_e64 v7, v8, v7, s[0:1]
	v_cmp_lt_f32_e64 s[0:1], 0, v12
	v_cndmask_b32_e64 v7, v7, v10, s[0:1]
	v_div_fixup_f32 v2, v5, v2, v3
	v_mul_f32_e32 v3, 0x4f800000, v2
	v_cmp_gt_f32_e64 s[0:1], s4, v2
	v_cndmask_b32_e64 v2, v2, v3, s[0:1]
	v_sqrt_f32_e32 v3, v2
	v_mul_f32_e32 v8, 0x37800000, v7
	v_cndmask_b32_e32 v5, v7, v8, vcc
	v_cmp_class_f32_e32 vcc, v4, v9
	v_cndmask_b32_e32 v4, v5, v4, vcc
	v_add_u32_e32 v5, -1, v3
	v_add_u32_e32 v7, 1, v3
	v_fma_f32 v8, -v5, v3, v2
	v_fma_f32 v10, -v7, v3, v2
	v_cmp_ge_f32_e32 vcc, 0, v8
	v_cndmask_b32_e32 v3, v3, v5, vcc
	v_cmp_lt_f32_e32 vcc, 0, v10
	v_cndmask_b32_e32 v3, v3, v7, vcc
	v_mul_f32_e32 v5, 0x37800000, v3
	v_cndmask_b32_e64 v3, v3, v5, s[0:1]
	v_cmp_class_f32_e32 vcc, v2, v9
	v_cndmask_b32_e32 v2, v3, v2, vcc
	v_add_f32_e32 v2, v4, v2
	v_mul_f32_e32 v2, v6, v2
	v_div_scale_f32 v3, s[0:1], v2, v2, 0.5
	v_div_scale_f32 v4, vcc, 0.5, v2, 0.5
	v_rcp_f32_e32 v5, v3
	v_fma_f32 v6, -v3, v5, 1.0
	v_fmac_f32_e32 v5, v6, v5
	v_mul_f32_e32 v6, v4, v5
	v_fma_f32 v7, -v3, v6, v4
	v_fmac_f32_e32 v6, v7, v5
	v_fma_f32 v3, -v3, v6, v4
	v_div_fmas_f32 v3, v3, v5, v6
	v_mov_b32_e32 v4, s7
	v_add_co_u32_e32 v0, vcc, s6, v0
	v_addc_co_u32_e32 v1, vcc, v4, v1, vcc
	v_div_fixup_f32 v2, v3, v2, 0.5
	global_store_dword v[0:1], v2, off
.LBB2_2:
	s_endpgm
	.section	.rodata,"a",@progbits
	.p2align	6, 0x0
	.amdhsa_kernel _Z19compute_step_factoriPfS_S_
		.amdhsa_group_segment_fixed_size 0
		.amdhsa_private_segment_fixed_size 0
		.amdhsa_kernarg_size 288
		.amdhsa_user_sgpr_count 6
		.amdhsa_user_sgpr_private_segment_buffer 1
		.amdhsa_user_sgpr_dispatch_ptr 0
		.amdhsa_user_sgpr_queue_ptr 0
		.amdhsa_user_sgpr_kernarg_segment_ptr 1
		.amdhsa_user_sgpr_dispatch_id 0
		.amdhsa_user_sgpr_flat_scratch_init 0
		.amdhsa_user_sgpr_private_segment_size 0
		.amdhsa_uses_dynamic_stack 0
		.amdhsa_system_sgpr_private_segment_wavefront_offset 0
		.amdhsa_system_sgpr_workgroup_id_x 1
		.amdhsa_system_sgpr_workgroup_id_y 0
		.amdhsa_system_sgpr_workgroup_id_z 0
		.amdhsa_system_sgpr_workgroup_info 0
		.amdhsa_system_vgpr_workitem_id 0
		.amdhsa_next_free_vgpr 21
		.amdhsa_next_free_sgpr 10
		.amdhsa_reserve_vcc 1
		.amdhsa_reserve_flat_scratch 0
		.amdhsa_float_round_mode_32 0
		.amdhsa_float_round_mode_16_64 0
		.amdhsa_float_denorm_mode_32 3
		.amdhsa_float_denorm_mode_16_64 3
		.amdhsa_dx10_clamp 1
		.amdhsa_ieee_mode 1
		.amdhsa_fp16_overflow 0
		.amdhsa_exception_fp_ieee_invalid_op 0
		.amdhsa_exception_fp_denorm_src 0
		.amdhsa_exception_fp_ieee_div_zero 0
		.amdhsa_exception_fp_ieee_overflow 0
		.amdhsa_exception_fp_ieee_underflow 0
		.amdhsa_exception_fp_ieee_inexact 0
		.amdhsa_exception_int_div_zero 0
	.end_amdhsa_kernel
	.text
.Lfunc_end2:
	.size	_Z19compute_step_factoriPfS_S_, .Lfunc_end2-_Z19compute_step_factoriPfS_S_
                                        ; -- End function
	.set _Z19compute_step_factoriPfS_S_.num_vgpr, 21
	.set _Z19compute_step_factoriPfS_S_.num_agpr, 0
	.set _Z19compute_step_factoriPfS_S_.numbered_sgpr, 10
	.set _Z19compute_step_factoriPfS_S_.num_named_barrier, 0
	.set _Z19compute_step_factoriPfS_S_.private_seg_size, 0
	.set _Z19compute_step_factoriPfS_S_.uses_vcc, 1
	.set _Z19compute_step_factoriPfS_S_.uses_flat_scratch, 0
	.set _Z19compute_step_factoriPfS_S_.has_dyn_sized_stack, 0
	.set _Z19compute_step_factoriPfS_S_.has_recursion, 0
	.set _Z19compute_step_factoriPfS_S_.has_indirect_call, 0
	.section	.AMDGPU.csdata,"",@progbits
; Kernel info:
; codeLenInByte = 1040
; TotalNumSgprs: 14
; NumVgprs: 21
; ScratchSize: 0
; MemoryBound: 0
; FloatMode: 240
; IeeeMode: 1
; LDSByteSize: 0 bytes/workgroup (compile time only)
; SGPRBlocks: 1
; VGPRBlocks: 5
; NumSGPRsForWavesPerEU: 14
; NumVGPRsForWavesPerEU: 21
; Occupancy: 10
; WaveLimiterHint : 0
; COMPUTE_PGM_RSRC2:SCRATCH_EN: 0
; COMPUTE_PGM_RSRC2:USER_SGPR: 6
; COMPUTE_PGM_RSRC2:TRAP_HANDLER: 0
; COMPUTE_PGM_RSRC2:TGID_X_EN: 1
; COMPUTE_PGM_RSRC2:TGID_Y_EN: 0
; COMPUTE_PGM_RSRC2:TGID_Z_EN: 0
; COMPUTE_PGM_RSRC2:TIDIG_COMP_CNT: 0
	.text
	.protected	_Z12compute_fluxiPiPfS0_S0_S0_P6Float3S2_S2_S2_ ; -- Begin function _Z12compute_fluxiPiPfS0_S0_S0_P6Float3S2_S2_S2_
	.globl	_Z12compute_fluxiPiPfS0_S0_S0_P6Float3S2_S2_S2_
	.p2align	8
	.type	_Z12compute_fluxiPiPfS0_S0_S0_P6Float3S2_S2_S2_,@function
_Z12compute_fluxiPiPfS0_S0_S0_P6Float3S2_S2_S2_: ; @_Z12compute_fluxiPiPfS0_S0_S0_P6Float3S2_S2_S2_
; %bb.0:
	s_load_dword s0, s[4:5], 0x5c
	s_load_dword s26, s[4:5], 0x0
	s_waitcnt lgkmcnt(0)
	s_and_b32 s0, s0, 0xffff
	s_mul_i32 s6, s6, s0
	v_add_u32_e32 v2, s6, v0
	v_cmp_gt_i32_e32 vcc, s26, v2
	s_and_saveexec_b64 s[0:1], vcc
	s_cbranch_execz .LBB3_42
; %bb.1:
	s_load_dwordx16 s[8:23], s[4:5], 0x8
	v_ashrrev_i32_e32 v3, 31, v2
	v_lshlrev_b64 v[0:1], 2, v[2:3]
	s_ashr_i32 s27, s26, 31
	s_add_i32 s0, s26, s26
	s_waitcnt lgkmcnt(0)
	v_mov_b32_e32 v3, s13
	v_add_co_u32_e32 v4, vcc, s12, v0
	v_addc_co_u32_e32 v5, vcc, v3, v1, vcc
	s_lshl_b64 s[24:25], s[26:27], 2
	v_add_u32_e32 v8, s0, v2
	v_mov_b32_e32 v3, s25
	v_add_co_u32_e32 v6, vcc, s24, v4
	v_ashrrev_i32_e32 v9, 31, v8
	v_addc_co_u32_e32 v7, vcc, v5, v3, vcc
	v_lshlrev_b64 v[2:3], 2, v[8:9]
	v_mov_b32_e32 v10, s13
	v_add_co_u32_e32 v9, vcc, s12, v2
	v_addc_co_u32_e32 v10, vcc, v10, v3, vcc
	global_load_dword v21, v[4:5], off
	global_load_dword v18, v[6:7], off
	;; [unrolled: 1-line block ×3, first 2 shown]
	v_add_u32_e32 v6, s26, v8
	v_ashrrev_i32_e32 v7, 31, v6
	v_lshlrev_b64 v[4:5], 2, v[6:7]
	v_mov_b32_e32 v8, s13
	v_add_co_u32_e32 v7, vcc, s12, v4
	v_addc_co_u32_e32 v8, vcc, v8, v5, vcc
	global_load_dword v16, v[7:8], off
	v_add_u32_e32 v8, s26, v6
	v_ashrrev_i32_e32 v9, 31, v8
	v_lshlrev_b64 v[6:7], 2, v[8:9]
	v_mov_b32_e32 v10, s13
	v_add_co_u32_e32 v9, vcc, s12, v6
	v_addc_co_u32_e32 v10, vcc, v10, v7, vcc
	global_load_dword v24, v[9:10], off
	v_mov_b32_e32 v11, s9
	v_add_co_u32_e32 v10, vcc, s8, v0
	v_addc_co_u32_e32 v11, vcc, v11, v1, vcc
	s_lshl_b32 s27, s26, 2
	v_add_u32_e32 v8, s27, v8
	v_ashrrev_i32_e32 v9, 31, v8
	v_lshlrev_b64 v[19:20], 2, v[8:9]
	v_mov_b32_e32 v15, s11
	v_mov_b32_e32 v13, s11
	v_add_co_u32_e64 v12, s[6:7], s10, v0
	v_mov_b32_e32 v25, s11
	v_addc_co_u32_e64 v13, s[6:7], v13, v1, s[6:7]
	global_load_dword v14, v[10:11], off
	global_load_dword v37, v[12:13], off
	s_load_dwordx2 s[6:7], s[4:5], 0x48
	s_mov_b32 s4, 0xf800000
	s_waitcnt vmcnt(5)
	v_div_scale_f32 v22, s[0:1], v21, v21, v18
	s_waitcnt vmcnt(4)
	v_div_scale_f32 v23, s[0:1], v21, v21, v17
	v_div_scale_f32 v27, vcc, v18, v21, v18
	s_waitcnt vmcnt(3)
	v_div_scale_f32 v26, s[0:1], v21, v21, v16
	v_div_scale_f32 v28, s[0:1], v17, v21, v17
	v_div_scale_f32 v29, s[2:3], v16, v21, v16
	v_rcp_f32_e32 v9, v22
	v_rcp_f32_e32 v30, v23
	v_fma_f32 v32, -v22, v9, 1.0
	v_fmac_f32_e32 v9, v32, v9
	v_fma_f32 v33, -v23, v30, 1.0
	v_fmac_f32_e32 v30, v33, v30
	v_mul_f32_e32 v32, v27, v9
	v_fma_f32 v35, -v22, v32, v27
	v_rcp_f32_e32 v31, v26
	v_fmac_f32_e32 v32, v35, v9
	v_mul_f32_e32 v33, v28, v30
	v_fma_f32 v36, -v23, v33, v28
	v_fma_f32 v34, -v26, v31, 1.0
	v_fmac_f32_e32 v31, v34, v31
	v_mul_f32_e32 v34, v29, v31
	v_fma_f32 v38, -v26, v34, v29
	v_fmac_f32_e32 v33, v36, v30
	v_fma_f32 v22, -v22, v32, v27
	v_fmac_f32_e32 v34, v38, v31
	v_fma_f32 v23, -v23, v33, v28
	v_div_fmas_f32 v27, v22, v9, v32
	s_mov_b64 vcc, s[0:1]
	v_fma_f32 v26, -v26, v34, v29
	v_div_fmas_f32 v28, v23, v30, v33
	s_mov_b64 vcc, s[2:3]
	v_div_fmas_f32 v26, v26, v31, v34
	v_add_co_u32_e32 v22, vcc, s10, v6
	v_addc_co_u32_e32 v23, vcc, v15, v7, vcc
	v_add_co_u32_e32 v19, vcc, s10, v19
	v_addc_co_u32_e32 v20, vcc, v25, v20, vcc
	global_load_dword v38, v[22:23], off
	global_load_dword v9, v[19:20], off
	v_mul_f32_e32 v15, -0.5, v21
	v_div_fixup_f32 v25, v27, v21, v18
	s_waitcnt vmcnt(4)
	v_mov_b32_e32 v34, v24
	v_mul_f32_e32 v23, v17, v25
	v_div_fixup_f32 v27, v28, v21, v17
	v_mul_f32_e32 v22, v27, v27
	v_div_fixup_f32 v31, v26, v21, v16
	v_fmac_f32_e32 v22, v25, v25
	v_fmac_f32_e32 v22, v31, v31
	v_fma_f32 v15, v15, v22, v24
	v_mul_f32_e32 v36, 0x3ecccccc, v15
	v_mul_f32_e32 v32, 0x3fb33333, v36
	v_div_scale_f32 v26, s[0:1], v21, v21, v32
	v_div_scale_f32 v28, vcc, v32, v21, v32
	v_mul_f32_e32 v29, 0x4f800000, v22
	v_cmp_gt_f32_e64 s[0:1], s4, v22
	v_cndmask_b32_e64 v30, v22, v29, s[0:1]
	v_fmac_f32_e32 v34, 0x3ecccccc, v15
	v_sqrt_f32_e32 v15, v30
	v_mul_f32_e32 v19, v25, v16
	v_mul_f32_e32 v20, v16, v27
	v_mov_b32_e32 v33, 0x260
	v_rcp_f32_e32 v35, v26
	v_fma_f32 v22, -v26, v35, 1.0
	v_fmac_f32_e32 v35, v22, v35
	v_mul_f32_e32 v22, v28, v35
	v_fma_f32 v29, -v26, v22, v28
	v_fmac_f32_e32 v22, v29, v35
	v_fma_f32 v26, -v26, v22, v28
	v_div_fmas_f32 v35, v26, v35, v22
	v_fma_f32 v29, v18, v25, v36
	v_fma_f32 v22, v16, v31, v36
	v_mul_f32_e32 v28, v25, v34
	v_mul_f32_e32 v25, v31, v34
	v_add_u32_e32 v31, -1, v15
	v_fma_f32 v26, v17, v27, v36
	v_mul_f32_e32 v27, v27, v34
	v_add_u32_e32 v34, 1, v15
	v_fma_f32 v39, -v31, v15, v30
	v_fma_f32 v40, -v34, v15, v30
	v_cmp_ge_f32_e64 s[2:3], 0, v39
	v_cndmask_b32_e64 v15, v15, v31, s[2:3]
	v_cmp_lt_f32_e64 s[2:3], 0, v40
	v_cndmask_b32_e64 v15, v15, v34, s[2:3]
	v_mul_f32_e32 v34, 0x37800000, v15
	v_div_fixup_f32 v31, v35, v21, v32
	v_mul_f32_e32 v32, 0x4f800000, v31
	v_cmp_gt_f32_e64 s[2:3], s4, v31
	v_cndmask_b32_e64 v31, v31, v32, s[2:3]
	v_sqrt_f32_e32 v32, v31
	v_cndmask_b32_e64 v39, v15, v34, s[0:1]
	v_cmp_class_f32_e32 vcc, v30, v33
	v_cmp_class_f32_e64 s[0:1], v31, v33
	v_add_u32_e32 v15, -1, v32
	v_add_u32_e32 v33, 1, v32
	v_fma_f32 v34, -v15, v32, v31
	v_fma_f32 v35, -v33, v32, v31
	v_cmp_ge_f32_e64 s[4:5], 0, v34
	v_cndmask_b32_e64 v15, v32, v15, s[4:5]
	v_cmp_lt_f32_e64 s[4:5], 0, v35
	v_cndmask_b32_e64 v15, v15, v33, s[4:5]
	v_mul_f32_e32 v32, 0x37800000, v15
	v_cndmask_b32_e64 v40, v15, v32, s[2:3]
	s_waitcnt vmcnt(3)
	v_cmp_gt_i32_e64 s[2:3], 0, v14
                                        ; implicit-def: $vgpr35
                                        ; implicit-def: $vgpr15
                                        ; implicit-def: $vgpr32
                                        ; implicit-def: $vgpr33
                                        ; implicit-def: $vgpr34
	s_and_saveexec_b64 s[4:5], s[2:3]
	s_xor_b64 s[4:5], exec, s[4:5]
	s_cbranch_execz .LBB3_9
; %bb.2:
	v_cmp_lt_i32_e64 s[2:3], -2, v14
                                        ; implicit-def: $vgpr15
                                        ; implicit-def: $vgpr32
                                        ; implicit-def: $vgpr33
	s_and_saveexec_b64 s[28:29], s[2:3]
	s_xor_b64 s[2:3], exec, s[28:29]
	s_cbranch_execz .LBB3_4
; %bb.3:
	s_waitcnt vmcnt(2)
	v_fma_f32 v33, v36, v37, 0
	s_waitcnt vmcnt(1)
	v_fma_f32 v32, v36, v38, 0
	;; [unrolled: 2-line block ×3, first 2 shown]
                                        ; implicit-def: $vgpr14
                                        ; implicit-def: $vgpr37
                                        ; implicit-def: $vgpr38
                                        ; implicit-def: $vgpr9
.LBB3_4:
	s_or_saveexec_b64 s[28:29], s[2:3]
	v_mov_b32_e32 v35, 0
	v_mov_b32_e32 v34, 0
	s_xor_b64 exec, exec, s[28:29]
	s_cbranch_execz .LBB3_8
; %bb.5:
	v_cmp_eq_u32_e64 s[2:3], -2, v14
	v_mov_b32_e32 v35, 0
	v_mov_b32_e32 v15, 0
	;; [unrolled: 1-line block ×5, first 2 shown]
	s_and_saveexec_b64 s[30:31], s[2:3]
	s_cbranch_execz .LBB3_7
; %bb.6:
	s_load_dwordx2 s[2:3], s[14:15], 0x4
	s_load_dword s33, s[14:15], 0xc
	s_load_dwordx2 s[34:35], s[18:19], 0x0
	s_load_dword s42, s[18:19], 0x8
	s_load_dwordx2 s[36:37], s[20:21], 0x0
	s_waitcnt vmcnt(2)
	v_mul_f32_e32 v14, 0.5, v37
	s_waitcnt vmcnt(0)
	v_mul_f32_e32 v9, 0.5, v9
	s_waitcnt lgkmcnt(0)
	v_add_f32_e32 v15, s2, v18
	s_load_dword s2, s[20:21], 0x8
	s_load_dwordx2 s[38:39], s[22:23], 0x0
	v_fma_f32 v35, v14, v15, 0
	v_add_f32_e32 v15, s34, v28
	s_load_dwordx2 s[40:41], s[6:7], 0x0
	s_load_dword s34, s[22:23], 0x8
	v_fma_f32 v34, v14, v15, 0
	v_add_f32_e32 v15, s36, v29
	v_fma_f32 v33, v14, v15, 0
	s_waitcnt lgkmcnt(0)
	v_add_f32_e32 v15, s38, v23
	v_fma_f32 v32, v14, v15, 0
	v_add_f32_e32 v15, s40, v19
	v_fma_f32 v15, v14, v15, 0
	v_mul_f32_e32 v14, 0.5, v38
	v_add_f32_e32 v37, s3, v17
	v_fmac_f32_e32 v35, v14, v37
	v_add_f32_e32 v37, s35, v27
	v_fmac_f32_e32 v34, v14, v37
	;; [unrolled: 2-line block ×3, first 2 shown]
	v_add_f32_e32 v37, s39, v26
	s_load_dword s36, s[6:7], 0x8
	v_fmac_f32_e32 v32, v14, v37
	v_add_f32_e32 v37, s41, v20
	v_fmac_f32_e32 v15, v14, v37
	v_add_f32_e32 v14, s33, v16
	;; [unrolled: 2-line block ×5, first 2 shown]
	v_fmac_f32_e32 v32, v9, v14
	s_waitcnt lgkmcnt(0)
	v_add_f32_e32 v14, s36, v22
	v_fmac_f32_e32 v15, v9, v14
.LBB3_7:
	s_or_b64 exec, exec, s[30:31]
.LBB3_8:
	s_or_b64 exec, exec, s[28:29]
                                        ; implicit-def: $vgpr38
                                        ; implicit-def: $vgpr37
                                        ; implicit-def: $vgpr9
                                        ; implicit-def: $vgpr14
.LBB3_9:
	s_or_saveexec_b64 s[28:29], s[4:5]
	v_cndmask_b32_e32 v30, v39, v30, vcc
	v_cndmask_b32_e64 v31, v40, v31, s[0:1]
	s_xor_b64 exec, exec, s[28:29]
	s_cbranch_execz .LBB3_11
; %bb.10:
	v_mov_b32_e32 v15, 0
	v_lshlrev_b64 v[32:33], 2, v[14:15]
	v_mov_b32_e32 v15, s13
	v_add_co_u32_e32 v32, vcc, s12, v32
	v_add_u32_e32 v14, s26, v14
	v_addc_co_u32_e32 v33, vcc, v15, v33, vcc
	v_ashrrev_i32_e32 v15, 31, v14
	v_lshlrev_b64 v[34:35], 2, v[14:15]
	v_mov_b32_e32 v15, s13
	v_add_co_u32_e32 v34, vcc, s12, v34
	v_add_u32_e32 v14, s26, v14
	v_addc_co_u32_e32 v35, vcc, v15, v35, vcc
	v_ashrrev_i32_e32 v15, 31, v14
	v_lshlrev_b64 v[39:40], 2, v[14:15]
	v_mov_b32_e32 v15, s13
	v_add_co_u32_e32 v39, vcc, s12, v39
	v_addc_co_u32_e32 v40, vcc, v15, v40, vcc
	global_load_dword v15, v[32:33], off
	s_nop 0
	global_load_dword v33, v[34:35], off
	global_load_dword v32, v[39:40], off
	v_add_u32_e32 v34, s26, v14
	v_ashrrev_i32_e32 v35, 31, v34
	v_lshlrev_b64 v[39:40], 2, v[34:35]
	v_mov_b32_e32 v14, s13
	v_add_co_u32_e32 v39, vcc, s12, v39
	v_addc_co_u32_e32 v40, vcc, v14, v40, vcc
	global_load_dword v14, v[39:40], off
	v_add_u32_e32 v34, s26, v34
	v_ashrrev_i32_e32 v35, 31, v34
	v_lshlrev_b64 v[34:35], 2, v[34:35]
	v_mov_b32_e32 v39, s13
	v_add_co_u32_e32 v34, vcc, s12, v34
	v_addc_co_u32_e32 v35, vcc, v39, v35, vcc
	global_load_dword v34, v[34:35], off
	s_waitcnt vmcnt(6)
	v_mul_f32_e32 v39, v38, v38
	v_fmac_f32_e32 v39, v37, v37
	s_mov_b32 s30, 0xf800000
	s_waitcnt vmcnt(5)
	v_fmac_f32_e32 v39, v9, v9
	v_mul_f32_e32 v40, 0.5, v37
	v_mul_f32_e32 v44, 0x4f800000, v39
	v_mov_b32_e32 v35, 0x260
	v_mul_f32_e32 v38, 0.5, v38
	v_mul_f32_e32 v9, 0.5, v9
	s_waitcnt vmcnt(3)
	v_div_scale_f32 v41, s[0:1], v15, v15, v33
	s_waitcnt vmcnt(2)
	v_div_scale_f32 v42, s[0:1], v15, v15, v32
	v_div_scale_f32 v37, vcc, v33, v15, v33
	s_waitcnt vmcnt(1)
	v_div_scale_f32 v43, s[0:1], v15, v15, v14
	v_cmp_gt_f32_e64 s[0:1], s30, v39
	v_cndmask_b32_e64 v39, v39, v44, s[0:1]
	v_div_scale_f32 v44, s[2:3], v32, v15, v32
	v_div_scale_f32 v46, s[4:5], v14, v15, v14
	v_rcp_f32_e32 v47, v41
	v_rcp_f32_e32 v49, v42
	v_sqrt_f32_e32 v45, v39
	s_waitcnt vmcnt(0)
	v_mov_b32_e32 v55, v34
	v_fma_f32 v51, -v41, v47, 1.0
	v_fmac_f32_e32 v47, v51, v47
	v_fma_f32 v51, -v42, v49, 1.0
	v_mul_f32_e32 v52, v37, v47
	v_rcp_f32_e32 v50, v43
	v_fmac_f32_e32 v49, v51, v49
	v_fma_f32 v53, -v41, v52, v37
	v_fmac_f32_e32 v52, v53, v47
	v_fma_f32 v51, -v43, v50, 1.0
	v_fmac_f32_e32 v50, v51, v50
	v_mul_f32_e32 v51, v44, v49
	v_fma_f32 v53, -v42, v51, v44
	v_mul_f32_e32 v54, v46, v50
	v_fma_f32 v37, -v41, v52, v37
	v_fmac_f32_e32 v51, v53, v49
	v_fma_f32 v41, -v43, v54, v46
	v_div_fmas_f32 v37, v37, v47, v52
	v_fma_f32 v42, -v42, v51, v44
	v_fmac_f32_e32 v54, v41, v50
	s_mov_b64 vcc, s[2:3]
	v_div_fmas_f32 v41, v42, v49, v51
	v_fma_f32 v42, -v43, v54, v46
	s_mov_b64 vcc, s[4:5]
	v_div_fmas_f32 v42, v42, v50, v54
	v_add_u32_e32 v48, -1, v45
	v_add_u32_e32 v43, 1, v45
	v_fma_f32 v44, -v48, v45, v39
	v_fma_f32 v46, -v43, v45, v39
	v_cmp_ge_f32_e32 vcc, 0, v44
	v_cndmask_b32_e32 v44, v45, v48, vcc
	v_cmp_lt_f32_e32 vcc, 0, v46
	v_cndmask_b32_e32 v43, v44, v43, vcc
	v_mul_f32_e32 v44, 0x37800000, v43
	v_cndmask_b32_e64 v43, v43, v44, s[0:1]
	v_cmp_class_f32_e32 vcc, v39, v35
	v_cndmask_b32_e32 v39, v43, v39, vcc
	v_div_fixup_f32 v41, v41, v15, v32
	v_mul_f32_e32 v43, 0xbe4ccccd, v39
	v_div_fixup_f32 v45, v37, v15, v33
	v_div_fixup_f32 v39, v42, v15, v14
	v_mul_f32_e32 v42, v41, v41
	v_fmac_f32_e32 v42, v45, v45
	v_mul_f32_e32 v44, 0.5, v15
	v_fmac_f32_e32 v42, v39, v39
	v_fma_f32 v44, -v44, v42, v34
	v_mul_f32_e32 v37, 0x3ecccccc, v44
	v_mul_f32_e32 v46, 0x3fb33333, v37
	v_div_scale_f32 v47, s[0:1], v15, v15, v46
	v_div_scale_f32 v52, vcc, v46, v15, v46
	v_fmac_f32_e32 v55, 0x3ecccccc, v44
	v_mul_f32_e32 v58, 0x4f800000, v42
	v_cmp_gt_f32_e64 s[0:1], s30, v42
	v_cndmask_b32_e64 v42, v42, v58, s[0:1]
	v_sqrt_f32_e32 v58, v42
	v_sub_f32_e32 v49, v18, v33
	v_add_f32_e32 v50, v18, v33
	v_sub_f32_e32 v51, v17, v32
	v_add_f32_e32 v53, v17, v32
	v_fma_f32 v56, v32, v45, v23
	v_fma_f32 v33, v33, v45, v37
	v_sub_f32_e32 v48, v21, v15
	v_rcp_f32_e32 v44, v47
	v_mul_f32_e32 v43, 0.5, v43
	v_sub_f32_e32 v54, v16, v14
	v_sub_f32_e32 v34, v24, v34
	v_fma_f32 v59, -v47, v44, 1.0
	v_fmac_f32_e32 v44, v59, v44
	v_mul_f32_e32 v59, v52, v44
	v_fma_f32 v60, -v47, v59, v52
	v_fmac_f32_e32 v59, v60, v44
	v_fma_f32 v47, -v47, v59, v52
	v_div_fmas_f32 v44, v47, v44, v59
	v_fma_f32 v47, v32, v41, v37
	v_add_u32_e32 v32, -1, v58
	v_add_f32_e32 v59, v29, v33
	v_add_u32_e32 v33, 1, v58
	v_fma_f32 v60, -v32, v58, v42
	v_fma_f32 v61, -v33, v58, v42
	v_cmp_ge_f32_e32 vcc, 0, v60
	v_cndmask_b32_e32 v32, v58, v32, vcc
	v_cmp_lt_f32_e32 vcc, 0, v61
	v_cndmask_b32_e32 v32, v32, v33, vcc
	v_mul_f32_e32 v33, 0x37800000, v32
	v_cndmask_b32_e64 v32, v32, v33, s[0:1]
	v_cmp_class_f32_e64 s[0:1], v42, v35
	v_cndmask_b32_e64 v32, v32, v42, s[0:1]
	v_add_f32_e32 v32, v30, v32
	v_div_fixup_f32 v15, v44, v15, v46
	v_mul_f32_e32 v33, 0x4f800000, v15
	v_cmp_gt_f32_e32 vcc, s30, v15
	v_cndmask_b32_e32 v15, v15, v33, vcc
	v_sqrt_f32_e32 v33, v15
	v_add_f32_e32 v32, v31, v32
	v_fma_f32 v57, v45, v14, v19
	v_fma_f32 v45, v45, v55, v28
	v_add_u32_e32 v42, -1, v33
	v_add_u32_e32 v44, 1, v33
	v_fma_f32 v46, -v42, v33, v15
	v_fma_f32 v58, -v44, v33, v15
	v_cmp_ge_f32_e64 s[0:1], 0, v46
	v_cndmask_b32_e64 v33, v33, v42, s[0:1]
	v_cmp_lt_f32_e64 s[0:1], 0, v58
	v_cndmask_b32_e64 v33, v33, v44, s[0:1]
	v_mul_f32_e32 v42, 0x37800000, v33
	v_cndmask_b32_e32 v33, v33, v42, vcc
	v_cmp_class_f32_e32 vcc, v15, v35
	v_cndmask_b32_e32 v15, v33, v15, vcc
	v_add_f32_e32 v15, v32, v15
	v_mul_f32_e32 v15, v43, v15
	v_fma_f32 v35, v48, v15, 0
	v_fma_f32 v34, v34, v15, 0
	;; [unrolled: 1-line block ×5, first 2 shown]
	v_fmac_f32_e32 v35, v40, v50
	v_fmac_f32_e32 v34, v40, v45
	;; [unrolled: 1-line block ×5, first 2 shown]
	v_add_f32_e32 v40, v26, v47
	v_fmac_f32_e32 v37, v14, v39
	v_fma_f32 v52, v41, v55, v27
	v_fmac_f32_e32 v35, v38, v53
	v_fmac_f32_e32 v32, v38, v40
	v_fma_f32 v40, v14, v41, v20
	v_add_f32_e32 v14, v16, v14
	v_fmac_f32_e32 v34, v38, v52
	v_fmac_f32_e32 v35, v9, v14
	v_fma_f32 v14, v39, v55, v25
	v_fmac_f32_e32 v33, v38, v56
	v_fmac_f32_e32 v15, v38, v40
	;; [unrolled: 1-line block ×3, first 2 shown]
	v_add_f32_e32 v14, v22, v37
	v_fmac_f32_e32 v33, v9, v57
	v_fmac_f32_e32 v32, v9, v40
	;; [unrolled: 1-line block ×3, first 2 shown]
.LBB3_11:
	s_or_b64 exec, exec, s[28:29]
	v_mov_b32_e32 v14, s25
	s_waitcnt vmcnt(0)
	v_add_co_u32_e32 v9, vcc, s24, v10
	s_mul_i32 s30, s26, -3
	v_addc_co_u32_e32 v10, vcc, v11, v14, vcc
	v_add_u32_e32 v8, s30, v8
	global_load_dword v10, v[9:10], off
	v_add_co_u32_e32 v11, vcc, s24, v12
	v_ashrrev_i32_e32 v9, 31, v8
	v_addc_co_u32_e32 v12, vcc, v13, v14, vcc
	v_lshlrev_b64 v[13:14], 2, v[8:9]
	v_mov_b32_e32 v9, s11
	v_add_co_u32_e32 v37, vcc, s10, v13
	v_add_u32_e32 v8, s27, v8
	v_addc_co_u32_e32 v38, vcc, v9, v14, vcc
	v_ashrrev_i32_e32 v9, 31, v8
	v_lshlrev_b64 v[13:14], 2, v[8:9]
	v_mov_b32_e32 v9, s11
	v_add_co_u32_e32 v39, vcc, s10, v13
	v_addc_co_u32_e32 v40, vcc, v9, v14, vcc
	global_load_dword v13, v[11:12], off
	s_nop 0
	global_load_dword v12, v[37:38], off
	global_load_dword v9, v[39:40], off
	s_waitcnt vmcnt(3)
	v_cmp_gt_i32_e32 vcc, 0, v10
	s_and_saveexec_b64 s[0:1], vcc
	s_xor_b64 s[0:1], exec, s[0:1]
	s_cbranch_execz .LBB3_19
; %bb.12:
	v_cmp_lt_i32_e32 vcc, -2, v10
	s_and_saveexec_b64 s[2:3], vcc
	s_xor_b64 s[2:3], exec, s[2:3]
	s_cbranch_execz .LBB3_14
; %bb.13:
	s_waitcnt vmcnt(2)
	v_fmac_f32_e32 v33, v36, v13
	s_waitcnt vmcnt(1)
	v_fmac_f32_e32 v32, v36, v12
	;; [unrolled: 2-line block ×3, first 2 shown]
                                        ; implicit-def: $vgpr10
                                        ; implicit-def: $vgpr13
                                        ; implicit-def: $vgpr12
                                        ; implicit-def: $vgpr9
.LBB3_14:
	s_andn2_saveexec_b64 s[2:3], s[2:3]
	s_cbranch_execz .LBB3_18
; %bb.15:
	v_cmp_eq_u32_e32 vcc, -2, v10
	s_and_saveexec_b64 s[4:5], vcc
	s_cbranch_execz .LBB3_17
; %bb.16:
	s_load_dwordx2 s[28:29], s[14:15], 0x4
	s_load_dword s31, s[14:15], 0xc
	s_load_dwordx2 s[34:35], s[18:19], 0x0
	s_load_dword s33, s[18:19], 0x8
	s_load_dwordx2 s[36:37], s[20:21], 0x0
	s_waitcnt vmcnt(2)
	v_mul_f32_e32 v10, 0.5, v13
	s_waitcnt vmcnt(0)
	v_mul_f32_e32 v9, 0.5, v9
	s_waitcnt lgkmcnt(0)
	v_add_f32_e32 v11, s28, v18
	s_load_dword s28, s[20:21], 0x8
	s_load_dwordx2 s[38:39], s[22:23], 0x0
	v_fmac_f32_e32 v35, v10, v11
	v_add_f32_e32 v11, s34, v28
	s_load_dwordx2 s[40:41], s[6:7], 0x0
	s_load_dword s34, s[22:23], 0x8
	v_fmac_f32_e32 v34, v10, v11
	v_add_f32_e32 v11, s36, v29
	v_fmac_f32_e32 v33, v10, v11
	s_waitcnt lgkmcnt(0)
	v_add_f32_e32 v11, s38, v23
	v_fmac_f32_e32 v32, v10, v11
	v_add_f32_e32 v11, s40, v19
	v_fmac_f32_e32 v15, v10, v11
	v_mul_f32_e32 v10, 0.5, v12
	v_add_f32_e32 v11, s29, v17
	v_fmac_f32_e32 v35, v10, v11
	v_add_f32_e32 v11, s35, v27
	v_fmac_f32_e32 v34, v10, v11
	v_add_f32_e32 v11, s37, v23
	v_fmac_f32_e32 v33, v10, v11
	v_add_f32_e32 v11, s39, v26
	s_load_dword s36, s[6:7], 0x8
	v_fmac_f32_e32 v32, v10, v11
	v_add_f32_e32 v11, s41, v20
	v_fmac_f32_e32 v15, v10, v11
	v_add_f32_e32 v10, s31, v16
	;; [unrolled: 2-line block ×5, first 2 shown]
	v_fmac_f32_e32 v32, v9, v10
	s_waitcnt lgkmcnt(0)
	v_add_f32_e32 v10, s36, v22
	v_fmac_f32_e32 v15, v9, v10
.LBB3_17:
	s_or_b64 exec, exec, s[4:5]
.LBB3_18:
	s_or_b64 exec, exec, s[2:3]
                                        ; implicit-def: $vgpr10
                                        ; implicit-def: $vgpr13
                                        ; implicit-def: $vgpr12
                                        ; implicit-def: $vgpr9
.LBB3_19:
	s_andn2_saveexec_b64 s[28:29], s[0:1]
	s_cbranch_execz .LBB3_21
; %bb.20:
	v_mov_b32_e32 v11, 0
	v_lshlrev_b64 v[37:38], 2, v[10:11]
	v_mov_b32_e32 v11, s13
	v_add_co_u32_e32 v37, vcc, s12, v37
	v_add_u32_e32 v10, s26, v10
	v_addc_co_u32_e32 v38, vcc, v11, v38, vcc
	v_ashrrev_i32_e32 v11, 31, v10
	v_lshlrev_b64 v[39:40], 2, v[10:11]
	v_mov_b32_e32 v11, s13
	v_add_co_u32_e32 v39, vcc, s12, v39
	v_add_u32_e32 v10, s26, v10
	v_addc_co_u32_e32 v40, vcc, v11, v40, vcc
	v_ashrrev_i32_e32 v11, 31, v10
	v_lshlrev_b64 v[41:42], 2, v[10:11]
	v_mov_b32_e32 v11, s13
	v_add_co_u32_e32 v41, vcc, s12, v41
	v_addc_co_u32_e32 v42, vcc, v11, v42, vcc
	global_load_dword v11, v[37:38], off
	s_nop 0
	global_load_dword v37, v[39:40], off
	global_load_dword v38, v[41:42], off
	v_add_u32_e32 v39, s26, v10
	v_ashrrev_i32_e32 v40, 31, v39
	v_lshlrev_b64 v[40:41], 2, v[39:40]
	v_mov_b32_e32 v10, s13
	v_add_co_u32_e32 v40, vcc, s12, v40
	v_addc_co_u32_e32 v41, vcc, v10, v41, vcc
	global_load_dword v10, v[40:41], off
	v_add_u32_e32 v39, s26, v39
	v_ashrrev_i32_e32 v40, 31, v39
	v_lshlrev_b64 v[39:40], 2, v[39:40]
	v_mov_b32_e32 v14, s13
	v_add_co_u32_e32 v39, vcc, s12, v39
	v_addc_co_u32_e32 v40, vcc, v14, v40, vcc
	global_load_dword v39, v[39:40], off
	s_waitcnt vmcnt(6)
	v_mul_f32_e32 v41, v12, v12
	v_mul_f32_e32 v40, 0.5, v13
	v_fmac_f32_e32 v41, v13, v13
	s_mov_b32 s31, 0xf800000
	s_waitcnt vmcnt(5)
	v_fmac_f32_e32 v41, v9, v9
	v_mul_f32_e32 v45, 0x4f800000, v41
	v_cmp_gt_f32_e64 s[2:3], s31, v41
	v_cndmask_b32_e64 v41, v41, v45, s[2:3]
	v_sqrt_f32_e32 v45, v41
	v_mov_b32_e32 v14, 0x260
	v_mul_f32_e32 v12, 0.5, v12
	v_mul_f32_e32 v9, 0.5, v9
	v_add_u32_e32 v49, -1, v45
	s_waitcnt vmcnt(3)
	v_div_scale_f32 v42, s[0:1], v11, v11, v37
	s_waitcnt vmcnt(2)
	v_div_scale_f32 v43, s[0:1], v11, v11, v38
	v_div_scale_f32 v13, vcc, v37, v11, v37
	s_waitcnt vmcnt(1)
	v_div_scale_f32 v44, s[0:1], v11, v11, v10
	v_div_scale_f32 v46, s[0:1], v38, v11, v38
	;; [unrolled: 1-line block ×3, first 2 shown]
	v_rcp_f32_e32 v48, v42
	v_rcp_f32_e32 v50, v43
	s_waitcnt vmcnt(0)
	v_mov_b32_e32 v56, v39
	v_fma_f32 v52, -v42, v48, 1.0
	v_fmac_f32_e32 v48, v52, v48
	v_fma_f32 v52, -v43, v50, 1.0
	v_mul_f32_e32 v53, v13, v48
	v_fmac_f32_e32 v50, v52, v50
	v_fma_f32 v54, -v42, v53, v13
	v_rcp_f32_e32 v51, v44
	v_fmac_f32_e32 v53, v54, v48
	v_mul_f32_e32 v55, v46, v50
	v_fma_f32 v13, -v42, v53, v13
	v_fma_f32 v52, -v44, v51, 1.0
	v_fmac_f32_e32 v51, v52, v51
	v_fma_f32 v52, -v43, v55, v46
	v_mul_f32_e32 v54, v47, v51
	v_fmac_f32_e32 v55, v52, v50
	v_fma_f32 v42, -v44, v54, v47
	v_div_fmas_f32 v13, v13, v48, v53
	v_fma_f32 v43, -v43, v55, v46
	s_mov_b64 vcc, s[0:1]
	v_fmac_f32_e32 v54, v42, v51
	v_div_fmas_f32 v42, v43, v50, v55
	v_fma_f32 v43, -v44, v54, v47
	s_mov_b64 vcc, s[4:5]
	v_div_fmas_f32 v43, v43, v51, v54
	v_add_u32_e32 v44, 1, v45
	v_fma_f32 v46, -v49, v45, v41
	v_fma_f32 v47, -v44, v45, v41
	v_cmp_ge_f32_e32 vcc, 0, v46
	v_cndmask_b32_e32 v45, v45, v49, vcc
	v_cmp_lt_f32_e32 vcc, 0, v47
	v_cndmask_b32_e32 v44, v45, v44, vcc
	v_mul_f32_e32 v45, 0x37800000, v44
	v_cndmask_b32_e64 v44, v44, v45, s[2:3]
	v_div_fixup_f32 v13, v13, v11, v37
	v_cmp_class_f32_e32 vcc, v41, v14
	v_cndmask_b32_e32 v41, v44, v41, vcc
	v_div_fixup_f32 v42, v42, v11, v38
	v_mul_f32_e32 v45, v42, v42
	v_fmac_f32_e32 v45, v13, v13
	v_div_fixup_f32 v43, v43, v11, v10
	v_mul_f32_e32 v44, 0.5, v11
	v_fmac_f32_e32 v45, v43, v43
	v_fma_f32 v44, -v44, v45, v39
	v_mul_f32_e32 v46, 0x3ecccccc, v44
	v_mul_f32_e32 v47, 0x3fb33333, v46
	v_div_scale_f32 v48, s[0:1], v11, v11, v47
	v_div_scale_f32 v53, vcc, v47, v11, v47
	v_fmac_f32_e32 v56, 0x3ecccccc, v44
	v_mul_f32_e32 v59, 0x4f800000, v45
	v_cmp_gt_f32_e64 s[0:1], s31, v45
	v_cndmask_b32_e64 v45, v45, v59, s[0:1]
	v_sub_f32_e32 v49, v21, v11
	v_mul_f32_e32 v41, 0xbe4ccccd, v41
	v_mul_f32_e32 v41, 0.5, v41
	v_sub_f32_e32 v52, v17, v38
	v_sub_f32_e32 v50, v18, v37
	v_add_f32_e32 v51, v18, v37
	v_add_f32_e32 v54, v17, v38
	v_sub_f32_e32 v55, v16, v10
	v_rcp_f32_e32 v44, v48
	v_sub_f32_e32 v39, v24, v39
	v_fma_f32 v57, v38, v13, v23
	v_fma_f32 v38, v38, v42, v46
	v_fma_f32 v59, -v48, v44, 1.0
	v_fmac_f32_e32 v44, v59, v44
	v_mul_f32_e32 v59, v53, v44
	v_fma_f32 v60, -v48, v59, v53
	v_fmac_f32_e32 v59, v60, v44
	v_fma_f32 v48, -v48, v59, v53
	v_div_fmas_f32 v44, v48, v44, v59
	v_sqrt_f32_e32 v48, v45
	v_fma_f32 v58, v13, v10, v19
	v_fma_f32 v37, v37, v13, v46
	;; [unrolled: 1-line block ×3, first 2 shown]
	v_add_u32_e32 v59, -1, v48
	v_add_u32_e32 v60, 1, v48
	v_fma_f32 v61, -v59, v48, v45
	v_fma_f32 v62, -v60, v48, v45
	v_cmp_ge_f32_e32 vcc, 0, v61
	v_cndmask_b32_e32 v48, v48, v59, vcc
	v_cmp_lt_f32_e32 vcc, 0, v62
	v_cndmask_b32_e32 v48, v48, v60, vcc
	v_mul_f32_e32 v59, 0x37800000, v48
	v_cndmask_b32_e64 v48, v48, v59, s[0:1]
	v_cmp_class_f32_e64 s[0:1], v45, v14
	v_div_fixup_f32 v11, v44, v11, v47
	v_mul_f32_e32 v44, 0x4f800000, v11
	v_cmp_gt_f32_e32 vcc, s31, v11
	v_cndmask_b32_e32 v11, v11, v44, vcc
	v_sqrt_f32_e32 v44, v11
	v_cndmask_b32_e64 v45, v48, v45, s[0:1]
	v_add_f32_e32 v45, v30, v45
	v_add_f32_e32 v45, v31, v45
	v_add_u32_e32 v47, -1, v44
	v_add_u32_e32 v48, 1, v44
	v_fma_f32 v59, -v47, v44, v11
	v_fma_f32 v60, -v48, v44, v11
	v_cmp_ge_f32_e64 s[0:1], 0, v59
	v_cndmask_b32_e64 v44, v44, v47, s[0:1]
	v_cmp_lt_f32_e64 s[0:1], 0, v60
	v_cndmask_b32_e64 v44, v44, v48, s[0:1]
	v_mul_f32_e32 v47, 0x37800000, v44
	v_cndmask_b32_e32 v44, v44, v47, vcc
	v_cmp_class_f32_e32 vcc, v11, v14
	v_cndmask_b32_e32 v11, v44, v11, vcc
	v_add_f32_e32 v11, v45, v11
	v_mul_f32_e32 v11, v41, v11
	v_fmac_f32_e32 v35, v49, v11
	v_fmac_f32_e32 v32, v52, v11
	;; [unrolled: 1-line block ×7, first 2 shown]
	v_add_f32_e32 v11, v26, v38
	v_fmac_f32_e32 v46, v10, v43
	v_fma_f32 v53, v42, v56, v27
	v_add_f32_e32 v37, v29, v37
	v_fmac_f32_e32 v34, v40, v13
	v_fmac_f32_e32 v35, v12, v54
	;; [unrolled: 1-line block ×3, first 2 shown]
	v_fma_f32 v11, v10, v42, v20
	v_add_f32_e32 v10, v16, v10
	v_fmac_f32_e32 v33, v40, v37
	v_fmac_f32_e32 v15, v40, v58
	;; [unrolled: 1-line block ×4, first 2 shown]
	v_fma_f32 v10, v43, v56, v25
	v_fmac_f32_e32 v33, v12, v57
	v_fmac_f32_e32 v15, v12, v11
	;; [unrolled: 1-line block ×3, first 2 shown]
	v_add_f32_e32 v10, v22, v46
	v_fmac_f32_e32 v33, v9, v58
	v_fmac_f32_e32 v32, v9, v11
	;; [unrolled: 1-line block ×3, first 2 shown]
.LBB3_21:
	s_or_b64 exec, exec, s[28:29]
	s_waitcnt vmcnt(0)
	v_mad_u64_u32 v[8:9], s[0:1], s26, -7, v[8:9]
	v_mov_b32_e32 v10, s9
	v_ashrrev_i32_e32 v9, 31, v8
	v_lshlrev_b64 v[11:12], 2, v[8:9]
	v_add_u32_e32 v8, s27, v8
	v_add_co_u32_e32 v9, vcc, s8, v11
	v_addc_co_u32_e32 v10, vcc, v10, v12, vcc
	global_load_dword v10, v[9:10], off
	v_mov_b32_e32 v9, s11
	v_add_co_u32_e32 v11, vcc, s10, v11
	v_addc_co_u32_e32 v12, vcc, v9, v12, vcc
	v_ashrrev_i32_e32 v9, 31, v8
	v_lshlrev_b64 v[13:14], 2, v[8:9]
	v_mov_b32_e32 v9, s11
	v_add_co_u32_e32 v37, vcc, s10, v13
	v_add_u32_e32 v8, s27, v8
	v_addc_co_u32_e32 v38, vcc, v9, v14, vcc
	v_ashrrev_i32_e32 v9, 31, v8
	v_lshlrev_b64 v[13:14], 2, v[8:9]
	v_mov_b32_e32 v9, s11
	v_add_co_u32_e32 v39, vcc, s10, v13
	v_addc_co_u32_e32 v40, vcc, v9, v14, vcc
	global_load_dword v13, v[11:12], off
	s_nop 0
	global_load_dword v12, v[37:38], off
	global_load_dword v9, v[39:40], off
	s_waitcnt vmcnt(3)
	v_cmp_gt_i32_e32 vcc, 0, v10
	s_and_saveexec_b64 s[0:1], vcc
	s_xor_b64 s[0:1], exec, s[0:1]
	s_cbranch_execz .LBB3_29
; %bb.22:
	v_cmp_lt_i32_e32 vcc, -2, v10
	s_and_saveexec_b64 s[2:3], vcc
	s_xor_b64 s[2:3], exec, s[2:3]
	s_cbranch_execz .LBB3_24
; %bb.23:
	s_waitcnt vmcnt(2)
	v_fmac_f32_e32 v33, v36, v13
	s_waitcnt vmcnt(1)
	v_fmac_f32_e32 v32, v36, v12
	s_waitcnt vmcnt(0)
	v_fmac_f32_e32 v15, v36, v9
                                        ; implicit-def: $vgpr10
                                        ; implicit-def: $vgpr13
                                        ; implicit-def: $vgpr12
                                        ; implicit-def: $vgpr9
.LBB3_24:
	s_andn2_saveexec_b64 s[2:3], s[2:3]
	s_cbranch_execz .LBB3_28
; %bb.25:
	v_cmp_eq_u32_e32 vcc, -2, v10
	s_and_saveexec_b64 s[4:5], vcc
	s_cbranch_execz .LBB3_27
; %bb.26:
	s_load_dwordx2 s[28:29], s[14:15], 0x4
	s_load_dword s31, s[14:15], 0xc
	s_load_dwordx2 s[34:35], s[18:19], 0x0
	s_load_dword s33, s[18:19], 0x8
	s_load_dwordx2 s[36:37], s[20:21], 0x0
	s_waitcnt vmcnt(2)
	v_mul_f32_e32 v10, 0.5, v13
	s_waitcnt vmcnt(0)
	v_mul_f32_e32 v9, 0.5, v9
	s_waitcnt lgkmcnt(0)
	v_add_f32_e32 v11, s28, v18
	s_load_dword s28, s[20:21], 0x8
	s_load_dwordx2 s[38:39], s[22:23], 0x0
	v_fmac_f32_e32 v35, v10, v11
	v_add_f32_e32 v11, s34, v28
	s_load_dwordx2 s[40:41], s[6:7], 0x0
	s_load_dword s34, s[22:23], 0x8
	v_fmac_f32_e32 v34, v10, v11
	v_add_f32_e32 v11, s36, v29
	v_fmac_f32_e32 v33, v10, v11
	s_waitcnt lgkmcnt(0)
	v_add_f32_e32 v11, s38, v23
	v_fmac_f32_e32 v32, v10, v11
	v_add_f32_e32 v11, s40, v19
	v_fmac_f32_e32 v15, v10, v11
	v_mul_f32_e32 v10, 0.5, v12
	v_add_f32_e32 v11, s29, v17
	v_fmac_f32_e32 v35, v10, v11
	v_add_f32_e32 v11, s35, v27
	v_fmac_f32_e32 v34, v10, v11
	;; [unrolled: 2-line block ×3, first 2 shown]
	v_add_f32_e32 v11, s39, v26
	s_load_dword s36, s[6:7], 0x8
	v_fmac_f32_e32 v32, v10, v11
	v_add_f32_e32 v11, s41, v20
	v_fmac_f32_e32 v15, v10, v11
	v_add_f32_e32 v10, s31, v16
	;; [unrolled: 2-line block ×5, first 2 shown]
	v_fmac_f32_e32 v32, v9, v10
	s_waitcnt lgkmcnt(0)
	v_add_f32_e32 v10, s36, v22
	v_fmac_f32_e32 v15, v9, v10
.LBB3_27:
	s_or_b64 exec, exec, s[4:5]
.LBB3_28:
	s_or_b64 exec, exec, s[2:3]
                                        ; implicit-def: $vgpr10
                                        ; implicit-def: $vgpr13
                                        ; implicit-def: $vgpr12
                                        ; implicit-def: $vgpr9
.LBB3_29:
	s_andn2_saveexec_b64 s[28:29], s[0:1]
	s_cbranch_execz .LBB3_31
; %bb.30:
	v_mov_b32_e32 v11, 0
	v_lshlrev_b64 v[37:38], 2, v[10:11]
	v_mov_b32_e32 v11, s13
	v_add_co_u32_e32 v37, vcc, s12, v37
	v_add_u32_e32 v10, s26, v10
	v_addc_co_u32_e32 v38, vcc, v11, v38, vcc
	v_ashrrev_i32_e32 v11, 31, v10
	v_lshlrev_b64 v[39:40], 2, v[10:11]
	v_mov_b32_e32 v11, s13
	v_add_co_u32_e32 v39, vcc, s12, v39
	v_add_u32_e32 v10, s26, v10
	v_addc_co_u32_e32 v40, vcc, v11, v40, vcc
	v_ashrrev_i32_e32 v11, 31, v10
	v_lshlrev_b64 v[41:42], 2, v[10:11]
	v_mov_b32_e32 v11, s13
	v_add_co_u32_e32 v41, vcc, s12, v41
	v_addc_co_u32_e32 v42, vcc, v11, v42, vcc
	global_load_dword v11, v[37:38], off
	s_nop 0
	global_load_dword v37, v[39:40], off
	global_load_dword v38, v[41:42], off
	v_add_u32_e32 v39, s26, v10
	v_ashrrev_i32_e32 v40, 31, v39
	v_lshlrev_b64 v[40:41], 2, v[39:40]
	v_mov_b32_e32 v10, s13
	v_add_co_u32_e32 v40, vcc, s12, v40
	v_addc_co_u32_e32 v41, vcc, v10, v41, vcc
	global_load_dword v10, v[40:41], off
	v_add_u32_e32 v39, s26, v39
	v_ashrrev_i32_e32 v40, 31, v39
	v_lshlrev_b64 v[39:40], 2, v[39:40]
	v_mov_b32_e32 v14, s13
	v_add_co_u32_e32 v39, vcc, s12, v39
	v_addc_co_u32_e32 v40, vcc, v14, v40, vcc
	global_load_dword v39, v[39:40], off
	s_waitcnt vmcnt(6)
	v_mul_f32_e32 v41, v12, v12
	v_mul_f32_e32 v40, 0.5, v13
	v_fmac_f32_e32 v41, v13, v13
	s_mov_b32 s31, 0xf800000
	s_waitcnt vmcnt(5)
	v_fmac_f32_e32 v41, v9, v9
	v_mul_f32_e32 v45, 0x4f800000, v41
	v_cmp_gt_f32_e64 s[2:3], s31, v41
	v_cndmask_b32_e64 v41, v41, v45, s[2:3]
	v_sqrt_f32_e32 v45, v41
	v_mov_b32_e32 v14, 0x260
	v_mul_f32_e32 v12, 0.5, v12
	v_mul_f32_e32 v9, 0.5, v9
	v_add_u32_e32 v49, -1, v45
	s_waitcnt vmcnt(3)
	v_div_scale_f32 v42, s[0:1], v11, v11, v37
	s_waitcnt vmcnt(2)
	v_div_scale_f32 v43, s[0:1], v11, v11, v38
	v_div_scale_f32 v13, vcc, v37, v11, v37
	s_waitcnt vmcnt(1)
	v_div_scale_f32 v44, s[0:1], v11, v11, v10
	v_div_scale_f32 v46, s[0:1], v38, v11, v38
	;; [unrolled: 1-line block ×3, first 2 shown]
	v_rcp_f32_e32 v48, v42
	v_rcp_f32_e32 v50, v43
	s_waitcnt vmcnt(0)
	v_mov_b32_e32 v56, v39
	v_fma_f32 v52, -v42, v48, 1.0
	v_fmac_f32_e32 v48, v52, v48
	v_fma_f32 v52, -v43, v50, 1.0
	v_mul_f32_e32 v53, v13, v48
	v_fmac_f32_e32 v50, v52, v50
	v_fma_f32 v54, -v42, v53, v13
	v_rcp_f32_e32 v51, v44
	v_fmac_f32_e32 v53, v54, v48
	v_mul_f32_e32 v55, v46, v50
	v_fma_f32 v13, -v42, v53, v13
	v_fma_f32 v52, -v44, v51, 1.0
	v_fmac_f32_e32 v51, v52, v51
	v_fma_f32 v52, -v43, v55, v46
	v_mul_f32_e32 v54, v47, v51
	v_fmac_f32_e32 v55, v52, v50
	v_fma_f32 v42, -v44, v54, v47
	v_div_fmas_f32 v13, v13, v48, v53
	v_fma_f32 v43, -v43, v55, v46
	s_mov_b64 vcc, s[0:1]
	v_fmac_f32_e32 v54, v42, v51
	v_div_fmas_f32 v42, v43, v50, v55
	v_fma_f32 v43, -v44, v54, v47
	s_mov_b64 vcc, s[4:5]
	v_div_fmas_f32 v43, v43, v51, v54
	v_add_u32_e32 v44, 1, v45
	v_fma_f32 v46, -v49, v45, v41
	v_fma_f32 v47, -v44, v45, v41
	v_cmp_ge_f32_e32 vcc, 0, v46
	v_cndmask_b32_e32 v45, v45, v49, vcc
	v_cmp_lt_f32_e32 vcc, 0, v47
	v_cndmask_b32_e32 v44, v45, v44, vcc
	v_mul_f32_e32 v45, 0x37800000, v44
	v_cndmask_b32_e64 v44, v44, v45, s[2:3]
	v_div_fixup_f32 v13, v13, v11, v37
	v_cmp_class_f32_e32 vcc, v41, v14
	v_cndmask_b32_e32 v41, v44, v41, vcc
	v_div_fixup_f32 v42, v42, v11, v38
	v_mul_f32_e32 v45, v42, v42
	v_fmac_f32_e32 v45, v13, v13
	v_div_fixup_f32 v43, v43, v11, v10
	v_mul_f32_e32 v44, 0.5, v11
	v_fmac_f32_e32 v45, v43, v43
	v_fma_f32 v44, -v44, v45, v39
	v_mul_f32_e32 v46, 0x3ecccccc, v44
	v_mul_f32_e32 v47, 0x3fb33333, v46
	v_div_scale_f32 v48, s[0:1], v11, v11, v47
	v_div_scale_f32 v53, vcc, v47, v11, v47
	v_fmac_f32_e32 v56, 0x3ecccccc, v44
	v_mul_f32_e32 v59, 0x4f800000, v45
	v_cmp_gt_f32_e64 s[0:1], s31, v45
	v_cndmask_b32_e64 v45, v45, v59, s[0:1]
	v_sub_f32_e32 v49, v21, v11
	v_mul_f32_e32 v41, 0xbe4ccccd, v41
	v_mul_f32_e32 v41, 0.5, v41
	v_sub_f32_e32 v52, v17, v38
	v_sub_f32_e32 v50, v18, v37
	v_add_f32_e32 v51, v18, v37
	v_add_f32_e32 v54, v17, v38
	v_sub_f32_e32 v55, v16, v10
	v_rcp_f32_e32 v44, v48
	v_sub_f32_e32 v39, v24, v39
	v_fma_f32 v57, v38, v13, v23
	v_fma_f32 v38, v38, v42, v46
	v_fma_f32 v59, -v48, v44, 1.0
	v_fmac_f32_e32 v44, v59, v44
	v_mul_f32_e32 v59, v53, v44
	v_fma_f32 v60, -v48, v59, v53
	v_fmac_f32_e32 v59, v60, v44
	v_fma_f32 v48, -v48, v59, v53
	v_div_fmas_f32 v44, v48, v44, v59
	v_sqrt_f32_e32 v48, v45
	v_fma_f32 v58, v13, v10, v19
	v_fma_f32 v37, v37, v13, v46
	;; [unrolled: 1-line block ×3, first 2 shown]
	v_add_u32_e32 v59, -1, v48
	v_add_u32_e32 v60, 1, v48
	v_fma_f32 v61, -v59, v48, v45
	v_fma_f32 v62, -v60, v48, v45
	v_cmp_ge_f32_e32 vcc, 0, v61
	v_cndmask_b32_e32 v48, v48, v59, vcc
	v_cmp_lt_f32_e32 vcc, 0, v62
	v_cndmask_b32_e32 v48, v48, v60, vcc
	v_mul_f32_e32 v59, 0x37800000, v48
	v_cndmask_b32_e64 v48, v48, v59, s[0:1]
	v_cmp_class_f32_e64 s[0:1], v45, v14
	v_div_fixup_f32 v11, v44, v11, v47
	v_mul_f32_e32 v44, 0x4f800000, v11
	v_cmp_gt_f32_e32 vcc, s31, v11
	v_cndmask_b32_e32 v11, v11, v44, vcc
	v_sqrt_f32_e32 v44, v11
	v_cndmask_b32_e64 v45, v48, v45, s[0:1]
	v_add_f32_e32 v45, v30, v45
	v_add_f32_e32 v45, v31, v45
	v_add_u32_e32 v47, -1, v44
	v_add_u32_e32 v48, 1, v44
	v_fma_f32 v59, -v47, v44, v11
	v_fma_f32 v60, -v48, v44, v11
	v_cmp_ge_f32_e64 s[0:1], 0, v59
	v_cndmask_b32_e64 v44, v44, v47, s[0:1]
	v_cmp_lt_f32_e64 s[0:1], 0, v60
	v_cndmask_b32_e64 v44, v44, v48, s[0:1]
	v_mul_f32_e32 v47, 0x37800000, v44
	v_cndmask_b32_e32 v44, v44, v47, vcc
	v_cmp_class_f32_e32 vcc, v11, v14
	v_cndmask_b32_e32 v11, v44, v11, vcc
	v_add_f32_e32 v11, v45, v11
	v_mul_f32_e32 v11, v41, v11
	v_fmac_f32_e32 v35, v49, v11
	v_fmac_f32_e32 v32, v52, v11
	;; [unrolled: 1-line block ×7, first 2 shown]
	v_add_f32_e32 v11, v26, v38
	v_fmac_f32_e32 v46, v10, v43
	v_fma_f32 v53, v42, v56, v27
	v_add_f32_e32 v37, v29, v37
	v_fmac_f32_e32 v34, v40, v13
	v_fmac_f32_e32 v35, v12, v54
	;; [unrolled: 1-line block ×3, first 2 shown]
	v_fma_f32 v11, v10, v42, v20
	v_add_f32_e32 v10, v16, v10
	v_fmac_f32_e32 v33, v40, v37
	v_fmac_f32_e32 v15, v40, v58
	;; [unrolled: 1-line block ×4, first 2 shown]
	v_fma_f32 v10, v43, v56, v25
	v_fmac_f32_e32 v33, v12, v57
	v_fmac_f32_e32 v15, v12, v11
	;; [unrolled: 1-line block ×3, first 2 shown]
	v_add_f32_e32 v10, v22, v46
	v_fmac_f32_e32 v33, v9, v58
	v_fmac_f32_e32 v32, v9, v11
	v_fmac_f32_e32 v15, v9, v10
.LBB3_31:
	s_or_b64 exec, exec, s[28:29]
	v_mov_b32_e32 v10, s9
	s_waitcnt vmcnt(0)
	v_add_co_u32_e32 v9, vcc, s8, v4
	v_add_u32_e32 v12, s30, v8
	v_addc_co_u32_e32 v10, vcc, v10, v5, vcc
	v_ashrrev_i32_e32 v13, 31, v12
	global_load_dword v9, v[9:10], off
	v_mov_b32_e32 v11, s11
	v_add_co_u32_e32 v10, vcc, s10, v4
	v_lshlrev_b64 v[13:14], 2, v[12:13]
	v_add_u32_e32 v37, s27, v12
	v_addc_co_u32_e32 v11, vcc, v11, v5, vcc
	v_ashrrev_i32_e32 v38, 31, v37
	v_mov_b32_e32 v8, s11
	v_add_co_u32_e32 v13, vcc, s10, v13
	v_lshlrev_b64 v[37:38], 2, v[37:38]
	v_addc_co_u32_e32 v14, vcc, v8, v14, vcc
	v_add_co_u32_e32 v37, vcc, s10, v37
	v_addc_co_u32_e32 v38, vcc, v8, v38, vcc
	global_load_dword v12, v[10:11], off
	s_nop 0
	global_load_dword v11, v[13:14], off
	global_load_dword v8, v[37:38], off
	s_waitcnt vmcnt(3)
	v_cmp_gt_i32_e32 vcc, 0, v9
	s_and_saveexec_b64 s[0:1], vcc
	s_xor_b64 s[0:1], exec, s[0:1]
	s_cbranch_execz .LBB3_39
; %bb.32:
	v_cmp_lt_i32_e32 vcc, -2, v9
	s_and_saveexec_b64 s[2:3], vcc
	s_xor_b64 s[2:3], exec, s[2:3]
	s_cbranch_execz .LBB3_34
; %bb.33:
	s_waitcnt vmcnt(2)
	v_fmac_f32_e32 v33, v36, v12
	s_waitcnt vmcnt(1)
	v_fmac_f32_e32 v32, v36, v11
	s_waitcnt vmcnt(0)
	v_fmac_f32_e32 v15, v36, v8
                                        ; implicit-def: $vgpr18
                                        ; implicit-def: $vgpr17
                                        ; implicit-def: $vgpr16
                                        ; implicit-def: $vgpr29
                                        ; implicit-def: $vgpr23
                                        ; implicit-def: $vgpr19
                                        ; implicit-def: $vgpr26
                                        ; implicit-def: $vgpr20
                                        ; implicit-def: $vgpr22
                                        ; implicit-def: $vgpr28
                                        ; implicit-def: $vgpr27
                                        ; implicit-def: $vgpr25
                                        ; implicit-def: $vgpr9
                                        ; implicit-def: $vgpr12
                                        ; implicit-def: $vgpr11
                                        ; implicit-def: $vgpr8
.LBB3_34:
	s_andn2_saveexec_b64 s[2:3], s[2:3]
	s_cbranch_execz .LBB3_38
; %bb.35:
	v_cmp_eq_u32_e32 vcc, -2, v9
	s_and_saveexec_b64 s[4:5], vcc
	s_cbranch_execz .LBB3_37
; %bb.36:
	s_load_dwordx2 s[8:9], s[14:15], 0x4
	s_load_dword s27, s[14:15], 0xc
	s_load_dwordx2 s[10:11], s[18:19], 0x0
	s_load_dword s28, s[18:19], 0x8
	s_waitcnt vmcnt(2)
	v_mul_f32_e32 v9, 0.5, v12
	s_load_dwordx2 s[14:15], s[20:21], 0x0
	s_waitcnt vmcnt(0)
	v_mul_f32_e32 v8, 0.5, v8
	s_waitcnt lgkmcnt(0)
	v_add_f32_e32 v10, s8, v18
	s_load_dword s8, s[20:21], 0x8
	s_load_dwordx2 s[18:19], s[22:23], 0x0
	v_fmac_f32_e32 v35, v9, v10
	v_add_f32_e32 v10, s10, v28
	s_load_dwordx2 s[20:21], s[6:7], 0x0
	s_load_dword s10, s[22:23], 0x8
	v_fmac_f32_e32 v34, v9, v10
	v_add_f32_e32 v10, s14, v29
	v_fmac_f32_e32 v33, v9, v10
	s_waitcnt lgkmcnt(0)
	v_add_f32_e32 v10, s18, v23
	v_fmac_f32_e32 v32, v9, v10
	v_add_f32_e32 v10, s20, v19
	v_fmac_f32_e32 v15, v9, v10
	v_mul_f32_e32 v9, 0.5, v11
	v_add_f32_e32 v10, s9, v17
	v_fmac_f32_e32 v35, v9, v10
	v_add_f32_e32 v10, s11, v27
	v_fmac_f32_e32 v34, v9, v10
	;; [unrolled: 2-line block ×3, first 2 shown]
	v_add_f32_e32 v10, s19, v26
	s_load_dword s6, s[6:7], 0x8
	v_fmac_f32_e32 v32, v9, v10
	v_add_f32_e32 v10, s21, v20
	v_fmac_f32_e32 v15, v9, v10
	v_add_f32_e32 v9, s27, v16
	;; [unrolled: 2-line block ×5, first 2 shown]
	v_fmac_f32_e32 v32, v8, v9
	s_waitcnt lgkmcnt(0)
	v_add_f32_e32 v9, s6, v22
	v_fmac_f32_e32 v15, v8, v9
.LBB3_37:
	s_or_b64 exec, exec, s[4:5]
.LBB3_38:
	s_or_b64 exec, exec, s[2:3]
                                        ; implicit-def: $vgpr21
                                        ; implicit-def: $vgpr18
                                        ; implicit-def: $vgpr17
                                        ; implicit-def: $vgpr16
                                        ; implicit-def: $vgpr24
                                        ; implicit-def: $vgpr30
                                        ; implicit-def: $vgpr31
                                        ; implicit-def: $vgpr29
                                        ; implicit-def: $vgpr23
                                        ; implicit-def: $vgpr19
                                        ; implicit-def: $vgpr26
                                        ; implicit-def: $vgpr20
                                        ; implicit-def: $vgpr22
                                        ; implicit-def: $vgpr28
                                        ; implicit-def: $vgpr27
                                        ; implicit-def: $vgpr25
                                        ; implicit-def: $vgpr9
                                        ; implicit-def: $vgpr12
                                        ; implicit-def: $vgpr11
                                        ; implicit-def: $vgpr8
.LBB3_39:
	s_waitcnt lgkmcnt(0)
	s_andn2_saveexec_b64 s[6:7], s[0:1]
	s_cbranch_execz .LBB3_41
; %bb.40:
	v_mov_b32_e32 v10, 0
	v_lshlrev_b64 v[13:14], 2, v[9:10]
	v_mov_b32_e32 v10, s13
	v_add_co_u32_e32 v13, vcc, s12, v13
	v_add_u32_e32 v9, s26, v9
	v_addc_co_u32_e32 v14, vcc, v10, v14, vcc
	v_ashrrev_i32_e32 v10, 31, v9
	v_lshlrev_b64 v[36:37], 2, v[9:10]
	v_mov_b32_e32 v10, s13
	v_add_co_u32_e32 v36, vcc, s12, v36
	v_add_u32_e32 v9, s26, v9
	v_addc_co_u32_e32 v37, vcc, v10, v37, vcc
	v_ashrrev_i32_e32 v10, 31, v9
	v_lshlrev_b64 v[38:39], 2, v[9:10]
	v_mov_b32_e32 v10, s13
	v_add_co_u32_e32 v38, vcc, s12, v38
	v_addc_co_u32_e32 v39, vcc, v10, v39, vcc
	global_load_dword v10, v[13:14], off
	s_nop 0
	global_load_dword v14, v[36:37], off
	s_nop 0
	global_load_dword v36, v[38:39], off
	v_add_u32_e32 v37, s26, v9
	v_ashrrev_i32_e32 v38, 31, v37
	v_lshlrev_b64 v[38:39], 2, v[37:38]
	v_mov_b32_e32 v9, s13
	v_add_co_u32_e32 v38, vcc, s12, v38
	v_addc_co_u32_e32 v39, vcc, v9, v39, vcc
	global_load_dword v9, v[38:39], off
	v_add_u32_e32 v37, s26, v37
	v_ashrrev_i32_e32 v38, 31, v37
	v_lshlrev_b64 v[37:38], 2, v[37:38]
	v_mov_b32_e32 v13, s13
	v_add_co_u32_e32 v37, vcc, s12, v37
	v_addc_co_u32_e32 v38, vcc, v13, v38, vcc
	global_load_dword v37, v[37:38], off
	s_waitcnt vmcnt(6)
	v_mul_f32_e32 v39, v11, v11
	v_mul_f32_e32 v38, 0.5, v12
	v_fmac_f32_e32 v39, v12, v12
	s_mov_b32 s8, 0xf800000
	s_waitcnt vmcnt(5)
	v_fmac_f32_e32 v39, v8, v8
	v_mul_f32_e32 v43, 0x4f800000, v39
	v_cmp_gt_f32_e64 s[2:3], s8, v39
	v_cndmask_b32_e64 v39, v39, v43, s[2:3]
	v_sqrt_f32_e32 v43, v39
	v_mov_b32_e32 v13, 0x260
	v_mul_f32_e32 v11, 0.5, v11
	v_mul_f32_e32 v8, 0.5, v8
	v_add_u32_e32 v47, -1, v43
	s_waitcnt vmcnt(4)
	v_sub_f32_e32 v21, v21, v10
	s_waitcnt vmcnt(3)
	v_div_scale_f32 v40, s[0:1], v10, v10, v14
	s_waitcnt vmcnt(2)
	v_div_scale_f32 v41, s[0:1], v10, v10, v36
	v_div_scale_f32 v12, vcc, v14, v10, v14
	s_waitcnt vmcnt(1)
	v_div_scale_f32 v42, s[0:1], v10, v10, v9
	v_div_scale_f32 v44, s[0:1], v36, v10, v36
	;; [unrolled: 1-line block ×3, first 2 shown]
	v_rcp_f32_e32 v46, v40
	v_rcp_f32_e32 v48, v41
	s_waitcnt vmcnt(0)
	v_sub_f32_e32 v24, v24, v37
	v_fma_f32 v50, -v40, v46, 1.0
	v_fmac_f32_e32 v46, v50, v46
	v_fma_f32 v50, -v41, v48, 1.0
	v_mul_f32_e32 v51, v12, v46
	v_fmac_f32_e32 v48, v50, v48
	v_fma_f32 v52, -v40, v51, v12
	v_rcp_f32_e32 v49, v42
	v_fmac_f32_e32 v51, v52, v46
	v_mul_f32_e32 v53, v44, v48
	v_fma_f32 v12, -v40, v51, v12
	v_fma_f32 v50, -v42, v49, 1.0
	v_fmac_f32_e32 v49, v50, v49
	v_fma_f32 v50, -v41, v53, v44
	v_mul_f32_e32 v52, v45, v49
	v_fmac_f32_e32 v53, v50, v48
	v_fma_f32 v40, -v42, v52, v45
	v_div_fmas_f32 v12, v12, v46, v51
	v_fma_f32 v41, -v41, v53, v44
	s_mov_b64 vcc, s[0:1]
	v_fmac_f32_e32 v52, v40, v49
	v_div_fmas_f32 v40, v41, v48, v53
	v_fma_f32 v41, -v42, v52, v45
	s_mov_b64 vcc, s[4:5]
	v_div_fmas_f32 v41, v41, v49, v52
	v_add_u32_e32 v42, 1, v43
	v_fma_f32 v44, -v47, v43, v39
	v_fma_f32 v45, -v42, v43, v39
	v_cmp_ge_f32_e32 vcc, 0, v44
	v_cndmask_b32_e32 v43, v43, v47, vcc
	v_cmp_lt_f32_e32 vcc, 0, v45
	v_cndmask_b32_e32 v42, v43, v42, vcc
	v_mul_f32_e32 v43, 0x37800000, v42
	v_cndmask_b32_e64 v42, v42, v43, s[2:3]
	v_div_fixup_f32 v12, v12, v10, v14
	v_cmp_class_f32_e32 vcc, v39, v13
	v_cndmask_b32_e32 v39, v42, v39, vcc
	v_div_fixup_f32 v40, v40, v10, v36
	v_mul_f32_e32 v43, v40, v40
	v_fmac_f32_e32 v43, v12, v12
	v_div_fixup_f32 v41, v41, v10, v9
	v_mul_f32_e32 v42, 0.5, v10
	v_fmac_f32_e32 v43, v41, v41
	v_fma_f32 v42, -v42, v43, v37
	v_mul_f32_e32 v44, 0x3ecccccc, v42
	v_mul_f32_e32 v45, 0x3fb33333, v44
	v_div_scale_f32 v46, s[0:1], v10, v10, v45
	v_div_scale_f32 v49, vcc, v45, v10, v45
	v_mov_b32_e32 v51, v37
	v_fmac_f32_e32 v51, 0x3ecccccc, v42
	v_mul_f32_e32 v37, 0x4f800000, v43
	v_cmp_gt_f32_e64 s[0:1], s8, v43
	v_cndmask_b32_e64 v37, v43, v37, s[0:1]
	v_sub_f32_e32 v47, v18, v14
	v_add_f32_e32 v18, v18, v14
	v_fma_f32 v14, v14, v12, v44
	v_fmac_f32_e32 v23, v36, v12
	v_fmac_f32_e32 v19, v12, v9
	;; [unrolled: 1-line block ×3, first 2 shown]
	v_add_f32_e32 v12, v29, v14
	v_rcp_f32_e32 v42, v46
	v_mul_f32_e32 v39, 0xbe4ccccd, v39
	v_mul_f32_e32 v39, 0.5, v39
	v_sub_f32_e32 v48, v17, v36
	v_fma_f32 v43, -v46, v42, 1.0
	v_fmac_f32_e32 v42, v43, v42
	v_mul_f32_e32 v43, v49, v42
	v_fma_f32 v52, -v46, v43, v49
	v_fmac_f32_e32 v43, v52, v42
	v_fma_f32 v46, -v46, v43, v49
	v_div_fmas_f32 v42, v46, v42, v43
	v_sqrt_f32_e32 v43, v37
	v_sub_f32_e32 v50, v16, v9
	v_add_f32_e32 v17, v17, v36
	v_fma_f32 v36, v36, v40, v44
	v_add_u32_e32 v14, -1, v43
	v_add_u32_e32 v29, 1, v43
	v_fma_f32 v46, -v14, v43, v37
	v_fma_f32 v49, -v29, v43, v37
	v_cmp_ge_f32_e32 vcc, 0, v46
	v_cndmask_b32_e32 v14, v43, v14, vcc
	v_cmp_lt_f32_e32 vcc, 0, v49
	v_cndmask_b32_e32 v14, v14, v29, vcc
	v_mul_f32_e32 v29, 0x37800000, v14
	v_cndmask_b32_e64 v14, v14, v29, s[0:1]
	v_cmp_class_f32_e64 s[0:1], v37, v13
	v_div_fixup_f32 v10, v42, v10, v45
	v_mul_f32_e32 v29, 0x4f800000, v10
	v_cmp_gt_f32_e32 vcc, s8, v10
	v_cndmask_b32_e32 v10, v10, v29, vcc
	v_sqrt_f32_e32 v29, v10
	v_cndmask_b32_e64 v14, v14, v37, s[0:1]
	v_add_f32_e32 v14, v30, v14
	v_add_f32_e32 v14, v31, v14
	v_add_u32_e32 v30, -1, v29
	v_add_u32_e32 v31, 1, v29
	v_fma_f32 v37, -v30, v29, v10
	v_fma_f32 v42, -v31, v29, v10
	v_cmp_ge_f32_e64 s[0:1], 0, v37
	v_cndmask_b32_e64 v29, v29, v30, s[0:1]
	v_cmp_lt_f32_e64 s[0:1], 0, v42
	v_cndmask_b32_e64 v29, v29, v31, s[0:1]
	v_mul_f32_e32 v30, 0x37800000, v29
	v_cndmask_b32_e32 v29, v29, v30, vcc
	v_cmp_class_f32_e32 vcc, v10, v13
	v_cndmask_b32_e32 v10, v29, v10, vcc
	v_add_f32_e32 v10, v14, v10
	v_mul_f32_e32 v10, v39, v10
	v_fmac_f32_e32 v35, v21, v10
	v_fmac_f32_e32 v34, v24, v10
	;; [unrolled: 1-line block ×13, first 2 shown]
	v_add_f32_e32 v10, v26, v36
	v_fmac_f32_e32 v20, v9, v40
	v_add_f32_e32 v9, v16, v9
	v_fmac_f32_e32 v34, v11, v27
	v_fmac_f32_e32 v33, v11, v23
	;; [unrolled: 1-line block ×6, first 2 shown]
	v_add_f32_e32 v9, v22, v44
	v_fmac_f32_e32 v34, v8, v25
	v_fmac_f32_e32 v33, v8, v19
	;; [unrolled: 1-line block ×4, first 2 shown]
.LBB3_41:
	s_or_b64 exec, exec, s[6:7]
	s_waitcnt vmcnt(0)
	v_mov_b32_e32 v8, s17
	v_add_co_u32_e32 v0, vcc, s16, v0
	v_addc_co_u32_e32 v1, vcc, v8, v1, vcc
	global_store_dword v[0:1], v35, off
	v_mov_b32_e32 v8, s25
	v_add_co_u32_e32 v0, vcc, s24, v0
	v_addc_co_u32_e32 v1, vcc, v1, v8, vcc
	global_store_dword v[0:1], v33, off
	v_mov_b32_e32 v1, s17
	v_add_co_u32_e32 v0, vcc, s16, v2
	v_addc_co_u32_e32 v1, vcc, v1, v3, vcc
	global_store_dword v[0:1], v32, off
	v_mov_b32_e32 v1, s17
	v_add_co_u32_e32 v0, vcc, s16, v4
	v_addc_co_u32_e32 v1, vcc, v1, v5, vcc
	global_store_dword v[0:1], v15, off
	v_mov_b32_e32 v1, s17
	v_add_co_u32_e32 v0, vcc, s16, v6
	v_addc_co_u32_e32 v1, vcc, v1, v7, vcc
	global_store_dword v[0:1], v34, off
.LBB3_42:
	s_endpgm
	.section	.rodata,"a",@progbits
	.p2align	6, 0x0
	.amdhsa_kernel _Z12compute_fluxiPiPfS0_S0_S0_P6Float3S2_S2_S2_
		.amdhsa_group_segment_fixed_size 0
		.amdhsa_private_segment_fixed_size 0
		.amdhsa_kernarg_size 336
		.amdhsa_user_sgpr_count 6
		.amdhsa_user_sgpr_private_segment_buffer 1
		.amdhsa_user_sgpr_dispatch_ptr 0
		.amdhsa_user_sgpr_queue_ptr 0
		.amdhsa_user_sgpr_kernarg_segment_ptr 1
		.amdhsa_user_sgpr_dispatch_id 0
		.amdhsa_user_sgpr_flat_scratch_init 0
		.amdhsa_user_sgpr_private_segment_size 0
		.amdhsa_uses_dynamic_stack 0
		.amdhsa_system_sgpr_private_segment_wavefront_offset 0
		.amdhsa_system_sgpr_workgroup_id_x 1
		.amdhsa_system_sgpr_workgroup_id_y 0
		.amdhsa_system_sgpr_workgroup_id_z 0
		.amdhsa_system_sgpr_workgroup_info 0
		.amdhsa_system_vgpr_workitem_id 0
		.amdhsa_next_free_vgpr 63
		.amdhsa_next_free_sgpr 43
		.amdhsa_reserve_vcc 1
		.amdhsa_reserve_flat_scratch 0
		.amdhsa_float_round_mode_32 0
		.amdhsa_float_round_mode_16_64 0
		.amdhsa_float_denorm_mode_32 3
		.amdhsa_float_denorm_mode_16_64 3
		.amdhsa_dx10_clamp 1
		.amdhsa_ieee_mode 1
		.amdhsa_fp16_overflow 0
		.amdhsa_exception_fp_ieee_invalid_op 0
		.amdhsa_exception_fp_denorm_src 0
		.amdhsa_exception_fp_ieee_div_zero 0
		.amdhsa_exception_fp_ieee_overflow 0
		.amdhsa_exception_fp_ieee_underflow 0
		.amdhsa_exception_fp_ieee_inexact 0
		.amdhsa_exception_int_div_zero 0
	.end_amdhsa_kernel
	.text
.Lfunc_end3:
	.size	_Z12compute_fluxiPiPfS0_S0_S0_P6Float3S2_S2_S2_, .Lfunc_end3-_Z12compute_fluxiPiPfS0_S0_S0_P6Float3S2_S2_S2_
                                        ; -- End function
	.set _Z12compute_fluxiPiPfS0_S0_S0_P6Float3S2_S2_S2_.num_vgpr, 63
	.set _Z12compute_fluxiPiPfS0_S0_S0_P6Float3S2_S2_S2_.num_agpr, 0
	.set _Z12compute_fluxiPiPfS0_S0_S0_P6Float3S2_S2_S2_.numbered_sgpr, 43
	.set _Z12compute_fluxiPiPfS0_S0_S0_P6Float3S2_S2_S2_.num_named_barrier, 0
	.set _Z12compute_fluxiPiPfS0_S0_S0_P6Float3S2_S2_S2_.private_seg_size, 0
	.set _Z12compute_fluxiPiPfS0_S0_S0_P6Float3S2_S2_S2_.uses_vcc, 1
	.set _Z12compute_fluxiPiPfS0_S0_S0_P6Float3S2_S2_S2_.uses_flat_scratch, 0
	.set _Z12compute_fluxiPiPfS0_S0_S0_P6Float3S2_S2_S2_.has_dyn_sized_stack, 0
	.set _Z12compute_fluxiPiPfS0_S0_S0_P6Float3S2_S2_S2_.has_recursion, 0
	.set _Z12compute_fluxiPiPfS0_S0_S0_P6Float3S2_S2_S2_.has_indirect_call, 0
	.section	.AMDGPU.csdata,"",@progbits
; Kernel info:
; codeLenInByte = 7300
; TotalNumSgprs: 47
; NumVgprs: 63
; ScratchSize: 0
; MemoryBound: 0
; FloatMode: 240
; IeeeMode: 1
; LDSByteSize: 0 bytes/workgroup (compile time only)
; SGPRBlocks: 5
; VGPRBlocks: 15
; NumSGPRsForWavesPerEU: 47
; NumVGPRsForWavesPerEU: 63
; Occupancy: 4
; WaveLimiterHint : 1
; COMPUTE_PGM_RSRC2:SCRATCH_EN: 0
; COMPUTE_PGM_RSRC2:USER_SGPR: 6
; COMPUTE_PGM_RSRC2:TRAP_HANDLER: 0
; COMPUTE_PGM_RSRC2:TGID_X_EN: 1
; COMPUTE_PGM_RSRC2:TGID_Y_EN: 0
; COMPUTE_PGM_RSRC2:TGID_Z_EN: 0
; COMPUTE_PGM_RSRC2:TIDIG_COMP_CNT: 0
	.text
	.protected	_Z9time_stepiiPKfPfS0_S0_ ; -- Begin function _Z9time_stepiiPKfPfS0_S0_
	.globl	_Z9time_stepiiPKfPfS0_S0_
	.p2align	8
	.type	_Z9time_stepiiPKfPfS0_S0_,@function
_Z9time_stepiiPKfPfS0_S0_:              ; @_Z9time_stepiiPKfPfS0_S0_
; %bb.0:
	s_load_dword s2, s[4:5], 0x34
	s_load_dwordx2 s[0:1], s[4:5], 0x0
	s_waitcnt lgkmcnt(0)
	s_and_b32 s2, s2, 0xffff
	s_mul_i32 s6, s6, s2
	v_add_u32_e32 v0, s6, v0
	v_cmp_gt_i32_e32 vcc, s1, v0
	s_and_saveexec_b64 s[2:3], vcc
	s_cbranch_execz .LBB4_2
; %bb.1:
	s_load_dwordx8 s[8:15], s[4:5], 0x8
	v_ashrrev_i32_e32 v1, 31, v0
	v_lshlrev_b64 v[1:2], 2, v[0:1]
	s_sub_i32 s0, 4, s0
	v_cvt_f32_i32_e32 v14, s0
	s_waitcnt lgkmcnt(0)
	v_mov_b32_e32 v4, s13
	v_add_co_u32_e32 v3, vcc, s12, v1
	v_addc_co_u32_e32 v4, vcc, v4, v2, vcc
	global_load_dword v11, v[3:4], off
	v_mov_b32_e32 v4, s9
	v_add_co_u32_e32 v3, vcc, s8, v1
	v_addc_co_u32_e32 v4, vcc, v4, v2, vcc
	v_mov_b32_e32 v6, s15
	v_add_co_u32_e32 v5, vcc, s14, v1
	v_addc_co_u32_e32 v6, vcc, v6, v2, vcc
	global_load_dword v12, v[3:4], off
	global_load_dword v13, v[5:6], off
	s_ashr_i32 s5, s1, 31
	s_mov_b32 s4, s1
	s_lshl_b64 s[4:5], s[4:5], 2
	s_add_i32 s0, s1, s1
	s_waitcnt vmcnt(2)
	v_div_scale_f32 v7, s[2:3], v14, v14, v11
	v_div_scale_f32 v8, vcc, v11, v14, v11
	s_lshl_b32 s2, s1, 2
	s_ashr_i32 s3, s2, 31
	s_lshl_b64 s[2:3], s[2:3], 2
	v_mov_b32_e32 v16, s3
	v_rcp_f32_e32 v9, v7
	v_fma_f32 v10, -v7, v9, 1.0
	v_fmac_f32_e32 v9, v10, v9
	v_mul_f32_e32 v10, v8, v9
	v_fma_f32 v15, -v7, v10, v8
	v_fmac_f32_e32 v10, v15, v9
	v_fma_f32 v7, -v7, v10, v8
	v_div_fmas_f32 v15, v7, v9, v10
	v_mov_b32_e32 v7, s11
	v_add_co_u32_e32 v1, vcc, s10, v1
	v_addc_co_u32_e32 v2, vcc, v7, v2, vcc
	v_add_co_u32_e32 v7, vcc, s2, v3
	v_addc_co_u32_e32 v8, vcc, v4, v16, vcc
	;; [unrolled: 2-line block ×3, first 2 shown]
	v_div_fixup_f32 v11, v15, v14, v11
	s_waitcnt vmcnt(0)
	v_fmac_f32_e32 v12, v11, v13
	global_store_dword v[1:2], v12, off
	global_load_dword v12, v[7:8], off
	s_nop 0
	global_load_dword v13, v[9:10], off
	v_add_co_u32_e32 v7, vcc, s2, v1
	v_addc_co_u32_e32 v8, vcc, v2, v16, vcc
	v_mov_b32_e32 v10, s5
	v_add_co_u32_e32 v3, vcc, s4, v3
	v_addc_co_u32_e32 v4, vcc, v4, v10, vcc
	v_add_co_u32_e32 v5, vcc, s4, v5
	v_addc_co_u32_e32 v6, vcc, v6, v10, vcc
	v_mov_b32_e32 v9, s15
	s_waitcnt vmcnt(0)
	v_fmac_f32_e32 v12, v11, v13
	global_store_dword v[7:8], v12, off
	global_load_dword v12, v[3:4], off
	s_nop 0
	global_load_dword v13, v[5:6], off
	v_add_u32_e32 v3, s0, v0
	v_ashrrev_i32_e32 v4, 31, v3
	v_lshlrev_b64 v[4:5], 2, v[3:4]
	v_mov_b32_e32 v0, s9
	v_add_co_u32_e32 v6, vcc, s8, v4
	v_addc_co_u32_e32 v7, vcc, v0, v5, vcc
	v_add_co_u32_e32 v8, vcc, s14, v4
	v_addc_co_u32_e32 v9, vcc, v9, v5, vcc
	;; [unrolled: 2-line block ×3, first 2 shown]
	v_add_co_u32_e32 v2, vcc, s10, v4
	s_waitcnt vmcnt(0)
	v_fmac_f32_e32 v12, v11, v13
	global_store_dword v[0:1], v12, off
	global_load_dword v10, v[6:7], off
	s_nop 0
	global_load_dword v12, v[8:9], off
	v_add_u32_e32 v0, s1, v3
	v_ashrrev_i32_e32 v1, 31, v0
	v_lshlrev_b64 v[0:1], 2, v[0:1]
	v_mov_b32_e32 v3, s11
	v_addc_co_u32_e32 v3, vcc, v3, v5, vcc
	v_mov_b32_e32 v6, s9
	v_add_co_u32_e32 v4, vcc, s8, v0
	v_addc_co_u32_e32 v5, vcc, v6, v1, vcc
	v_mov_b32_e32 v7, s15
	v_add_co_u32_e32 v6, vcc, s14, v0
	v_addc_co_u32_e32 v7, vcc, v7, v1, vcc
	v_add_co_u32_e32 v0, vcc, s10, v0
	s_waitcnt vmcnt(0)
	v_fmac_f32_e32 v10, v11, v12
	global_store_dword v[2:3], v10, off
	global_load_dword v2, v[4:5], off
	s_nop 0
	global_load_dword v3, v[6:7], off
	v_mov_b32_e32 v4, s11
	v_addc_co_u32_e32 v1, vcc, v4, v1, vcc
	s_waitcnt vmcnt(0)
	v_fmac_f32_e32 v2, v11, v3
	global_store_dword v[0:1], v2, off
.LBB4_2:
	s_endpgm
	.section	.rodata,"a",@progbits
	.p2align	6, 0x0
	.amdhsa_kernel _Z9time_stepiiPKfPfS0_S0_
		.amdhsa_group_segment_fixed_size 0
		.amdhsa_private_segment_fixed_size 0
		.amdhsa_kernarg_size 296
		.amdhsa_user_sgpr_count 6
		.amdhsa_user_sgpr_private_segment_buffer 1
		.amdhsa_user_sgpr_dispatch_ptr 0
		.amdhsa_user_sgpr_queue_ptr 0
		.amdhsa_user_sgpr_kernarg_segment_ptr 1
		.amdhsa_user_sgpr_dispatch_id 0
		.amdhsa_user_sgpr_flat_scratch_init 0
		.amdhsa_user_sgpr_private_segment_size 0
		.amdhsa_uses_dynamic_stack 0
		.amdhsa_system_sgpr_private_segment_wavefront_offset 0
		.amdhsa_system_sgpr_workgroup_id_x 1
		.amdhsa_system_sgpr_workgroup_id_y 0
		.amdhsa_system_sgpr_workgroup_id_z 0
		.amdhsa_system_sgpr_workgroup_info 0
		.amdhsa_system_vgpr_workitem_id 0
		.amdhsa_next_free_vgpr 17
		.amdhsa_next_free_sgpr 16
		.amdhsa_reserve_vcc 1
		.amdhsa_reserve_flat_scratch 0
		.amdhsa_float_round_mode_32 0
		.amdhsa_float_round_mode_16_64 0
		.amdhsa_float_denorm_mode_32 3
		.amdhsa_float_denorm_mode_16_64 3
		.amdhsa_dx10_clamp 1
		.amdhsa_ieee_mode 1
		.amdhsa_fp16_overflow 0
		.amdhsa_exception_fp_ieee_invalid_op 0
		.amdhsa_exception_fp_denorm_src 0
		.amdhsa_exception_fp_ieee_div_zero 0
		.amdhsa_exception_fp_ieee_overflow 0
		.amdhsa_exception_fp_ieee_underflow 0
		.amdhsa_exception_fp_ieee_inexact 0
		.amdhsa_exception_int_div_zero 0
	.end_amdhsa_kernel
	.text
.Lfunc_end4:
	.size	_Z9time_stepiiPKfPfS0_S0_, .Lfunc_end4-_Z9time_stepiiPKfPfS0_S0_
                                        ; -- End function
	.set _Z9time_stepiiPKfPfS0_S0_.num_vgpr, 17
	.set _Z9time_stepiiPKfPfS0_S0_.num_agpr, 0
	.set _Z9time_stepiiPKfPfS0_S0_.numbered_sgpr, 16
	.set _Z9time_stepiiPKfPfS0_S0_.num_named_barrier, 0
	.set _Z9time_stepiiPKfPfS0_S0_.private_seg_size, 0
	.set _Z9time_stepiiPKfPfS0_S0_.uses_vcc, 1
	.set _Z9time_stepiiPKfPfS0_S0_.uses_flat_scratch, 0
	.set _Z9time_stepiiPKfPfS0_S0_.has_dyn_sized_stack, 0
	.set _Z9time_stepiiPKfPfS0_S0_.has_recursion, 0
	.set _Z9time_stepiiPKfPfS0_S0_.has_indirect_call, 0
	.section	.AMDGPU.csdata,"",@progbits
; Kernel info:
; codeLenInByte = 580
; TotalNumSgprs: 20
; NumVgprs: 17
; ScratchSize: 0
; MemoryBound: 0
; FloatMode: 240
; IeeeMode: 1
; LDSByteSize: 0 bytes/workgroup (compile time only)
; SGPRBlocks: 2
; VGPRBlocks: 4
; NumSGPRsForWavesPerEU: 20
; NumVGPRsForWavesPerEU: 17
; Occupancy: 10
; WaveLimiterHint : 0
; COMPUTE_PGM_RSRC2:SCRATCH_EN: 0
; COMPUTE_PGM_RSRC2:USER_SGPR: 6
; COMPUTE_PGM_RSRC2:TRAP_HANDLER: 0
; COMPUTE_PGM_RSRC2:TGID_X_EN: 1
; COMPUTE_PGM_RSRC2:TGID_Y_EN: 0
; COMPUTE_PGM_RSRC2:TGID_Z_EN: 0
; COMPUTE_PGM_RSRC2:TIDIG_COMP_CNT: 0
	.section	.AMDGPU.gpr_maximums,"",@progbits
	.set amdgpu.max_num_vgpr, 0
	.set amdgpu.max_num_agpr, 0
	.set amdgpu.max_num_sgpr, 0
	.section	.AMDGPU.csdata,"",@progbits
	.type	__hip_cuid_a9884cd600ef07d,@object ; @__hip_cuid_a9884cd600ef07d
	.section	.bss,"aw",@nobits
	.globl	__hip_cuid_a9884cd600ef07d
__hip_cuid_a9884cd600ef07d:
	.byte	0                               ; 0x0
	.size	__hip_cuid_a9884cd600ef07d, 1

	.ident	"AMD clang version 22.0.0git (https://github.com/RadeonOpenCompute/llvm-project roc-7.2.4 26084 f58b06dce1f9c15707c5f808fd002e18c2accf7e)"
	.section	".note.GNU-stack","",@progbits
	.addrsig
	.addrsig_sym __hip_cuid_a9884cd600ef07d
	.amdgpu_metadata
---
amdhsa.kernels:
  - .args:
      - .address_space:  global
        .offset:         0
        .size:           8
        .value_kind:     global_buffer
      - .offset:         8
        .size:           4
        .value_kind:     by_value
      - .offset:         12
        .size:           4
        .value_kind:     by_value
      - .offset:         16
        .size:           4
        .value_kind:     hidden_block_count_x
      - .offset:         20
        .size:           4
        .value_kind:     hidden_block_count_y
      - .offset:         24
        .size:           4
        .value_kind:     hidden_block_count_z
      - .offset:         28
        .size:           2
        .value_kind:     hidden_group_size_x
      - .offset:         30
        .size:           2
        .value_kind:     hidden_group_size_y
      - .offset:         32
        .size:           2
        .value_kind:     hidden_group_size_z
      - .offset:         34
        .size:           2
        .value_kind:     hidden_remainder_x
      - .offset:         36
        .size:           2
        .value_kind:     hidden_remainder_y
      - .offset:         38
        .size:           2
        .value_kind:     hidden_remainder_z
      - .offset:         56
        .size:           8
        .value_kind:     hidden_global_offset_x
      - .offset:         64
        .size:           8
        .value_kind:     hidden_global_offset_y
      - .offset:         72
        .size:           8
        .value_kind:     hidden_global_offset_z
      - .offset:         80
        .size:           2
        .value_kind:     hidden_grid_dims
    .group_segment_fixed_size: 0
    .kernarg_segment_align: 8
    .kernarg_segment_size: 272
    .language:       OpenCL C
    .language_version:
      - 2
      - 0
    .max_flat_workgroup_size: 1024
    .name:           _Z17initialize_bufferPffi
    .private_segment_fixed_size: 0
    .sgpr_count:     11
    .sgpr_spill_count: 0
    .symbol:         _Z17initialize_bufferPffi.kd
    .uniform_work_group_size: 1
    .uses_dynamic_stack: false
    .vgpr_count:     3
    .vgpr_spill_count: 0
    .wavefront_size: 64
  - .args:
      - .offset:         0
        .size:           4
        .value_kind:     by_value
      - .address_space:  global
        .offset:         8
        .size:           8
        .value_kind:     global_buffer
      - .address_space:  global
        .offset:         16
        .size:           8
        .value_kind:     global_buffer
      - .offset:         24
        .size:           4
        .value_kind:     hidden_block_count_x
      - .offset:         28
        .size:           4
        .value_kind:     hidden_block_count_y
      - .offset:         32
        .size:           4
        .value_kind:     hidden_block_count_z
      - .offset:         36
        .size:           2
        .value_kind:     hidden_group_size_x
      - .offset:         38
        .size:           2
        .value_kind:     hidden_group_size_y
      - .offset:         40
        .size:           2
        .value_kind:     hidden_group_size_z
      - .offset:         42
        .size:           2
        .value_kind:     hidden_remainder_x
      - .offset:         44
        .size:           2
        .value_kind:     hidden_remainder_y
      - .offset:         46
        .size:           2
        .value_kind:     hidden_remainder_z
      - .offset:         64
        .size:           8
        .value_kind:     hidden_global_offset_x
      - .offset:         72
        .size:           8
        .value_kind:     hidden_global_offset_y
      - .offset:         80
        .size:           8
        .value_kind:     hidden_global_offset_z
      - .offset:         88
        .size:           2
        .value_kind:     hidden_grid_dims
    .group_segment_fixed_size: 0
    .kernarg_segment_align: 8
    .kernarg_segment_size: 280
    .language:       OpenCL C
    .language_version:
      - 2
      - 0
    .max_flat_workgroup_size: 1024
    .name:           _Z20initialize_variablesiPfPKf
    .private_segment_fixed_size: 0
    .sgpr_count:     12
    .sgpr_spill_count: 0
    .symbol:         _Z20initialize_variablesiPfPKf.kd
    .uniform_work_group_size: 1
    .uses_dynamic_stack: false
    .vgpr_count:     6
    .vgpr_spill_count: 0
    .wavefront_size: 64
  - .args:
      - .offset:         0
        .size:           4
        .value_kind:     by_value
      - .address_space:  global
        .offset:         8
        .size:           8
        .value_kind:     global_buffer
      - .address_space:  global
        .offset:         16
        .size:           8
        .value_kind:     global_buffer
      - .address_space:  global
        .offset:         24
        .size:           8
        .value_kind:     global_buffer
      - .offset:         32
        .size:           4
        .value_kind:     hidden_block_count_x
      - .offset:         36
        .size:           4
        .value_kind:     hidden_block_count_y
      - .offset:         40
        .size:           4
        .value_kind:     hidden_block_count_z
      - .offset:         44
        .size:           2
        .value_kind:     hidden_group_size_x
      - .offset:         46
        .size:           2
        .value_kind:     hidden_group_size_y
      - .offset:         48
        .size:           2
        .value_kind:     hidden_group_size_z
      - .offset:         50
        .size:           2
        .value_kind:     hidden_remainder_x
      - .offset:         52
        .size:           2
        .value_kind:     hidden_remainder_y
      - .offset:         54
        .size:           2
        .value_kind:     hidden_remainder_z
      - .offset:         72
        .size:           8
        .value_kind:     hidden_global_offset_x
      - .offset:         80
        .size:           8
        .value_kind:     hidden_global_offset_y
      - .offset:         88
        .size:           8
        .value_kind:     hidden_global_offset_z
      - .offset:         96
        .size:           2
        .value_kind:     hidden_grid_dims
    .group_segment_fixed_size: 0
    .kernarg_segment_align: 8
    .kernarg_segment_size: 288
    .language:       OpenCL C
    .language_version:
      - 2
      - 0
    .max_flat_workgroup_size: 1024
    .name:           _Z19compute_step_factoriPfS_S_
    .private_segment_fixed_size: 0
    .sgpr_count:     14
    .sgpr_spill_count: 0
    .symbol:         _Z19compute_step_factoriPfS_S_.kd
    .uniform_work_group_size: 1
    .uses_dynamic_stack: false
    .vgpr_count:     21
    .vgpr_spill_count: 0
    .wavefront_size: 64
  - .args:
      - .offset:         0
        .size:           4
        .value_kind:     by_value
      - .address_space:  global
        .offset:         8
        .size:           8
        .value_kind:     global_buffer
      - .address_space:  global
        .offset:         16
        .size:           8
        .value_kind:     global_buffer
      - .address_space:  global
        .offset:         24
        .size:           8
        .value_kind:     global_buffer
      - .address_space:  global
        .offset:         32
        .size:           8
        .value_kind:     global_buffer
      - .address_space:  global
        .offset:         40
        .size:           8
        .value_kind:     global_buffer
      - .address_space:  global
        .offset:         48
        .size:           8
        .value_kind:     global_buffer
      - .address_space:  global
        .offset:         56
        .size:           8
        .value_kind:     global_buffer
      - .address_space:  global
        .offset:         64
        .size:           8
        .value_kind:     global_buffer
      - .address_space:  global
        .offset:         72
        .size:           8
        .value_kind:     global_buffer
      - .offset:         80
        .size:           4
        .value_kind:     hidden_block_count_x
      - .offset:         84
        .size:           4
        .value_kind:     hidden_block_count_y
      - .offset:         88
        .size:           4
        .value_kind:     hidden_block_count_z
      - .offset:         92
        .size:           2
        .value_kind:     hidden_group_size_x
      - .offset:         94
        .size:           2
        .value_kind:     hidden_group_size_y
      - .offset:         96
        .size:           2
        .value_kind:     hidden_group_size_z
      - .offset:         98
        .size:           2
        .value_kind:     hidden_remainder_x
      - .offset:         100
        .size:           2
        .value_kind:     hidden_remainder_y
      - .offset:         102
        .size:           2
        .value_kind:     hidden_remainder_z
      - .offset:         120
        .size:           8
        .value_kind:     hidden_global_offset_x
      - .offset:         128
        .size:           8
        .value_kind:     hidden_global_offset_y
      - .offset:         136
        .size:           8
        .value_kind:     hidden_global_offset_z
      - .offset:         144
        .size:           2
        .value_kind:     hidden_grid_dims
    .group_segment_fixed_size: 0
    .kernarg_segment_align: 8
    .kernarg_segment_size: 336
    .language:       OpenCL C
    .language_version:
      - 2
      - 0
    .max_flat_workgroup_size: 1024
    .name:           _Z12compute_fluxiPiPfS0_S0_S0_P6Float3S2_S2_S2_
    .private_segment_fixed_size: 0
    .sgpr_count:     47
    .sgpr_spill_count: 0
    .symbol:         _Z12compute_fluxiPiPfS0_S0_S0_P6Float3S2_S2_S2_.kd
    .uniform_work_group_size: 1
    .uses_dynamic_stack: false
    .vgpr_count:     63
    .vgpr_spill_count: 0
    .wavefront_size: 64
  - .args:
      - .offset:         0
        .size:           4
        .value_kind:     by_value
      - .offset:         4
        .size:           4
        .value_kind:     by_value
      - .address_space:  global
        .offset:         8
        .size:           8
        .value_kind:     global_buffer
      - .address_space:  global
        .offset:         16
        .size:           8
        .value_kind:     global_buffer
      - .address_space:  global
        .offset:         24
        .size:           8
        .value_kind:     global_buffer
      - .address_space:  global
        .offset:         32
        .size:           8
        .value_kind:     global_buffer
      - .offset:         40
        .size:           4
        .value_kind:     hidden_block_count_x
      - .offset:         44
        .size:           4
        .value_kind:     hidden_block_count_y
      - .offset:         48
        .size:           4
        .value_kind:     hidden_block_count_z
      - .offset:         52
        .size:           2
        .value_kind:     hidden_group_size_x
      - .offset:         54
        .size:           2
        .value_kind:     hidden_group_size_y
      - .offset:         56
        .size:           2
        .value_kind:     hidden_group_size_z
      - .offset:         58
        .size:           2
        .value_kind:     hidden_remainder_x
      - .offset:         60
        .size:           2
        .value_kind:     hidden_remainder_y
      - .offset:         62
        .size:           2
        .value_kind:     hidden_remainder_z
      - .offset:         80
        .size:           8
        .value_kind:     hidden_global_offset_x
      - .offset:         88
        .size:           8
        .value_kind:     hidden_global_offset_y
      - .offset:         96
        .size:           8
        .value_kind:     hidden_global_offset_z
      - .offset:         104
        .size:           2
        .value_kind:     hidden_grid_dims
    .group_segment_fixed_size: 0
    .kernarg_segment_align: 8
    .kernarg_segment_size: 296
    .language:       OpenCL C
    .language_version:
      - 2
      - 0
    .max_flat_workgroup_size: 1024
    .name:           _Z9time_stepiiPKfPfS0_S0_
    .private_segment_fixed_size: 0
    .sgpr_count:     20
    .sgpr_spill_count: 0
    .symbol:         _Z9time_stepiiPKfPfS0_S0_.kd
    .uniform_work_group_size: 1
    .uses_dynamic_stack: false
    .vgpr_count:     17
    .vgpr_spill_count: 0
    .wavefront_size: 64
amdhsa.target:   amdgcn-amd-amdhsa--gfx906
amdhsa.version:
  - 1
  - 2
...

	.end_amdgpu_metadata
